;; amdgpu-corpus repo=ROCm/rocFFT kind=compiled arch=gfx906 opt=O3
	.text
	.amdgcn_target "amdgcn-amd-amdhsa--gfx906"
	.amdhsa_code_object_version 6
	.protected	fft_rtc_back_len1020_factors_2_17_2_3_5_wgs_204_tpt_68_halfLds_dp_op_CI_CI_unitstride_sbrr_R2C_dirReg ; -- Begin function fft_rtc_back_len1020_factors_2_17_2_3_5_wgs_204_tpt_68_halfLds_dp_op_CI_CI_unitstride_sbrr_R2C_dirReg
	.globl	fft_rtc_back_len1020_factors_2_17_2_3_5_wgs_204_tpt_68_halfLds_dp_op_CI_CI_unitstride_sbrr_R2C_dirReg
	.p2align	8
	.type	fft_rtc_back_len1020_factors_2_17_2_3_5_wgs_204_tpt_68_halfLds_dp_op_CI_CI_unitstride_sbrr_R2C_dirReg,@function
fft_rtc_back_len1020_factors_2_17_2_3_5_wgs_204_tpt_68_halfLds_dp_op_CI_CI_unitstride_sbrr_R2C_dirReg: ; @fft_rtc_back_len1020_factors_2_17_2_3_5_wgs_204_tpt_68_halfLds_dp_op_CI_CI_unitstride_sbrr_R2C_dirReg
; %bb.0:
	s_load_dwordx4 s[8:11], s[4:5], 0x58
	s_load_dwordx4 s[12:15], s[4:5], 0x0
	;; [unrolled: 1-line block ×3, first 2 shown]
	v_mul_u32_u24_e32 v1, 0x3c4, v0
	s_mov_b64 s[62:63], s[2:3]
	v_lshrrev_b32_e32 v1, 16, v1
	s_mov_b64 s[60:61], s[0:1]
	v_mad_u64_u32 v[3:4], s[0:1], s6, 3, v[1:2]
	v_mov_b32_e32 v5, 0
	v_mov_b32_e32 v1, 0
	;; [unrolled: 1-line block ×3, first 2 shown]
	s_waitcnt lgkmcnt(0)
	v_cmp_lt_u64_e64 s[0:1], s[14:15], 2
	v_mov_b32_e32 v2, 0
	s_add_u32 s60, s60, s7
	v_mov_b32_e32 v89, v2
	v_mov_b32_e32 v93, v4
	s_addc_u32 s61, s61, 0
	s_and_b64 vcc, exec, s[0:1]
	v_mov_b32_e32 v88, v1
	v_mov_b32_e32 v92, v3
	s_cbranch_vccnz .LBB0_8
; %bb.1:
	s_load_dwordx2 s[0:1], s[4:5], 0x10
	s_add_u32 s2, s18, 8
	s_addc_u32 s3, s19, 0
	s_add_u32 s6, s16, 8
	v_mov_b32_e32 v1, 0
	s_addc_u32 s7, s17, 0
	v_mov_b32_e32 v2, 0
	s_waitcnt lgkmcnt(0)
	s_add_u32 s20, s0, 8
	v_mov_b32_e32 v89, v2
	v_mov_b32_e32 v8, v4
	s_addc_u32 s21, s1, 0
	s_mov_b64 s[22:23], 1
	v_mov_b32_e32 v88, v1
	v_mov_b32_e32 v7, v3
.LBB0_2:                                ; =>This Inner Loop Header: Depth=1
	s_load_dwordx2 s[24:25], s[20:21], 0x0
                                        ; implicit-def: $vgpr92_vgpr93
	s_waitcnt lgkmcnt(0)
	v_or_b32_e32 v6, s25, v8
	v_cmp_ne_u64_e32 vcc, 0, v[5:6]
	s_and_saveexec_b64 s[0:1], vcc
	s_xor_b64 s[26:27], exec, s[0:1]
	s_cbranch_execz .LBB0_4
; %bb.3:                                ;   in Loop: Header=BB0_2 Depth=1
	v_cvt_f32_u32_e32 v4, s24
	v_cvt_f32_u32_e32 v6, s25
	s_sub_u32 s0, 0, s24
	s_subb_u32 s1, 0, s25
	v_mac_f32_e32 v4, 0x4f800000, v6
	v_rcp_f32_e32 v4, v4
	v_mul_f32_e32 v4, 0x5f7ffffc, v4
	v_mul_f32_e32 v6, 0x2f800000, v4
	v_trunc_f32_e32 v6, v6
	v_mac_f32_e32 v4, 0xcf800000, v6
	v_cvt_u32_f32_e32 v6, v6
	v_cvt_u32_f32_e32 v4, v4
	v_mul_lo_u32 v9, s0, v6
	v_mul_hi_u32 v10, s0, v4
	v_mul_lo_u32 v12, s1, v4
	v_mul_lo_u32 v11, s0, v4
	v_add_u32_e32 v9, v10, v9
	v_add_u32_e32 v9, v9, v12
	v_mul_hi_u32 v10, v4, v11
	v_mul_lo_u32 v12, v4, v9
	v_mul_hi_u32 v14, v4, v9
	v_mul_hi_u32 v13, v6, v11
	v_mul_lo_u32 v11, v6, v11
	v_mul_hi_u32 v15, v6, v9
	v_add_co_u32_e32 v10, vcc, v10, v12
	v_addc_co_u32_e32 v12, vcc, 0, v14, vcc
	v_mul_lo_u32 v9, v6, v9
	v_add_co_u32_e32 v10, vcc, v10, v11
	v_addc_co_u32_e32 v10, vcc, v12, v13, vcc
	v_addc_co_u32_e32 v11, vcc, 0, v15, vcc
	v_add_co_u32_e32 v9, vcc, v10, v9
	v_addc_co_u32_e32 v10, vcc, 0, v11, vcc
	v_add_co_u32_e32 v4, vcc, v4, v9
	v_addc_co_u32_e32 v6, vcc, v6, v10, vcc
	v_mul_lo_u32 v9, s0, v6
	v_mul_hi_u32 v10, s0, v4
	v_mul_lo_u32 v11, s1, v4
	v_mul_lo_u32 v12, s0, v4
	v_add_u32_e32 v9, v10, v9
	v_add_u32_e32 v9, v9, v11
	v_mul_lo_u32 v13, v4, v9
	v_mul_hi_u32 v14, v4, v12
	v_mul_hi_u32 v15, v4, v9
	;; [unrolled: 1-line block ×3, first 2 shown]
	v_mul_lo_u32 v12, v6, v12
	v_mul_hi_u32 v10, v6, v9
	v_add_co_u32_e32 v13, vcc, v14, v13
	v_addc_co_u32_e32 v14, vcc, 0, v15, vcc
	v_mul_lo_u32 v9, v6, v9
	v_add_co_u32_e32 v12, vcc, v13, v12
	v_addc_co_u32_e32 v11, vcc, v14, v11, vcc
	v_addc_co_u32_e32 v10, vcc, 0, v10, vcc
	v_add_co_u32_e32 v9, vcc, v11, v9
	v_addc_co_u32_e32 v10, vcc, 0, v10, vcc
	v_add_co_u32_e32 v4, vcc, v4, v9
	v_addc_co_u32_e32 v6, vcc, v6, v10, vcc
	v_mad_u64_u32 v[9:10], s[0:1], v7, v6, 0
	v_mul_hi_u32 v11, v7, v4
	v_add_co_u32_e32 v13, vcc, v11, v9
	v_addc_co_u32_e32 v14, vcc, 0, v10, vcc
	v_mad_u64_u32 v[9:10], s[0:1], v8, v4, 0
	v_mad_u64_u32 v[11:12], s[0:1], v8, v6, 0
	v_add_co_u32_e32 v4, vcc, v13, v9
	v_addc_co_u32_e32 v4, vcc, v14, v10, vcc
	v_addc_co_u32_e32 v6, vcc, 0, v12, vcc
	v_add_co_u32_e32 v4, vcc, v4, v11
	v_addc_co_u32_e32 v6, vcc, 0, v6, vcc
	v_mul_lo_u32 v11, s25, v4
	v_mul_lo_u32 v12, s24, v6
	v_mad_u64_u32 v[9:10], s[0:1], s24, v4, 0
	v_add3_u32 v10, v10, v12, v11
	v_sub_u32_e32 v11, v8, v10
	v_mov_b32_e32 v12, s25
	v_sub_co_u32_e32 v9, vcc, v7, v9
	v_subb_co_u32_e64 v11, s[0:1], v11, v12, vcc
	v_subrev_co_u32_e64 v12, s[0:1], s24, v9
	v_subbrev_co_u32_e64 v11, s[0:1], 0, v11, s[0:1]
	v_cmp_le_u32_e64 s[0:1], s25, v11
	v_cndmask_b32_e64 v13, 0, -1, s[0:1]
	v_cmp_le_u32_e64 s[0:1], s24, v12
	v_cndmask_b32_e64 v12, 0, -1, s[0:1]
	v_cmp_eq_u32_e64 s[0:1], s25, v11
	v_cndmask_b32_e64 v11, v13, v12, s[0:1]
	v_add_co_u32_e64 v12, s[0:1], 2, v4
	v_addc_co_u32_e64 v13, s[0:1], 0, v6, s[0:1]
	v_add_co_u32_e64 v14, s[0:1], 1, v4
	v_addc_co_u32_e64 v15, s[0:1], 0, v6, s[0:1]
	v_subb_co_u32_e32 v10, vcc, v8, v10, vcc
	v_cmp_ne_u32_e64 s[0:1], 0, v11
	v_cmp_le_u32_e32 vcc, s25, v10
	v_cndmask_b32_e64 v11, v15, v13, s[0:1]
	v_cndmask_b32_e64 v13, 0, -1, vcc
	v_cmp_le_u32_e32 vcc, s24, v9
	v_cndmask_b32_e64 v9, 0, -1, vcc
	v_cmp_eq_u32_e32 vcc, s25, v10
	v_cndmask_b32_e32 v9, v13, v9, vcc
	v_cmp_ne_u32_e32 vcc, 0, v9
	v_cndmask_b32_e32 v93, v6, v11, vcc
	v_cndmask_b32_e64 v6, v14, v12, s[0:1]
	v_cndmask_b32_e32 v92, v4, v6, vcc
.LBB0_4:                                ;   in Loop: Header=BB0_2 Depth=1
	s_andn2_saveexec_b64 s[0:1], s[26:27]
	s_cbranch_execz .LBB0_6
; %bb.5:                                ;   in Loop: Header=BB0_2 Depth=1
	v_cvt_f32_u32_e32 v4, s24
	s_sub_i32 s26, 0, s24
	v_mov_b32_e32 v93, v5
	v_rcp_iflag_f32_e32 v4, v4
	v_mul_f32_e32 v4, 0x4f7ffffe, v4
	v_cvt_u32_f32_e32 v4, v4
	v_mul_lo_u32 v6, s26, v4
	v_mul_hi_u32 v6, v4, v6
	v_add_u32_e32 v4, v4, v6
	v_mul_hi_u32 v4, v7, v4
	v_mul_lo_u32 v6, v4, s24
	v_add_u32_e32 v9, 1, v4
	v_sub_u32_e32 v6, v7, v6
	v_subrev_u32_e32 v10, s24, v6
	v_cmp_le_u32_e32 vcc, s24, v6
	v_cndmask_b32_e32 v6, v6, v10, vcc
	v_cndmask_b32_e32 v4, v4, v9, vcc
	v_add_u32_e32 v9, 1, v4
	v_cmp_le_u32_e32 vcc, s24, v6
	v_cndmask_b32_e32 v92, v4, v9, vcc
.LBB0_6:                                ;   in Loop: Header=BB0_2 Depth=1
	s_or_b64 exec, exec, s[0:1]
	v_mul_lo_u32 v4, v93, s24
	v_mul_lo_u32 v6, v92, s25
	v_mad_u64_u32 v[9:10], s[0:1], v92, s24, 0
	s_load_dwordx2 s[0:1], s[6:7], 0x0
	s_load_dwordx2 s[24:25], s[2:3], 0x0
	v_add3_u32 v4, v10, v6, v4
	v_sub_co_u32_e32 v6, vcc, v7, v9
	v_subb_co_u32_e32 v4, vcc, v8, v4, vcc
	s_waitcnt lgkmcnt(0)
	v_mul_lo_u32 v7, s0, v4
	v_mul_lo_u32 v8, s1, v6
	v_mad_u64_u32 v[1:2], s[0:1], s0, v6, v[1:2]
	s_add_u32 s22, s22, 1
	s_addc_u32 s23, s23, 0
	s_add_u32 s2, s2, 8
	v_mul_lo_u32 v4, s24, v4
	v_mul_lo_u32 v9, s25, v6
	v_mad_u64_u32 v[88:89], s[0:1], s24, v6, v[88:89]
	v_add3_u32 v2, v8, v2, v7
	s_addc_u32 s3, s3, 0
	v_mov_b32_e32 v6, s14
	s_add_u32 s6, s6, 8
	v_mov_b32_e32 v7, s15
	s_addc_u32 s7, s7, 0
	v_cmp_ge_u64_e32 vcc, s[22:23], v[6:7]
	s_add_u32 s20, s20, 8
	v_add3_u32 v89, v9, v89, v4
	s_addc_u32 s21, s21, 0
	s_cbranch_vccnz .LBB0_8
; %bb.7:                                ;   in Loop: Header=BB0_2 Depth=1
	v_mov_b32_e32 v7, v92
	v_mov_b32_e32 v8, v93
	s_branch .LBB0_2
.LBB0_8:
	s_mov_b32 s0, 0xaaaaaaab
	s_load_dwordx2 s[4:5], s[4:5], 0x28
	v_mul_hi_u32 v4, v3, s0
	s_lshl_b64 s[6:7], s[14:15], 3
	s_add_u32 s2, s18, s6
	s_addc_u32 s3, s19, s7
	v_lshrrev_b32_e32 v4, 1, v4
	v_lshl_add_u32 v4, v4, 1, v4
	s_waitcnt lgkmcnt(0)
	v_cmp_gt_u64_e64 s[0:1], s[4:5], v[92:93]
	v_cmp_le_u64_e32 vcc, s[4:5], v[92:93]
	v_sub_u32_e32 v3, v3, v4
                                        ; implicit-def: $vgpr90
                                        ; implicit-def: $vgpr94
                                        ; implicit-def: $vgpr105
                                        ; implicit-def: $vgpr103
                                        ; implicit-def: $vgpr101
                                        ; implicit-def: $vgpr99
                                        ; implicit-def: $vgpr97
                                        ; implicit-def: $vgpr96
	s_and_saveexec_b64 s[4:5], vcc
	s_xor_b64 s[4:5], exec, s[4:5]
; %bb.9:
	s_mov_b32 s14, 0x3c3c3c4
	v_mul_hi_u32 v1, v0, s14
	v_mul_u32_u24_e32 v1, 0x44, v1
	v_sub_u32_e32 v90, v0, v1
	v_add_u32_e32 v94, 0x44, v90
	v_add_u32_e32 v105, 0x88, v90
	;; [unrolled: 1-line block ×7, first 2 shown]
                                        ; implicit-def: $vgpr0
                                        ; implicit-def: $vgpr1_vgpr2
; %bb.10:
	s_or_saveexec_b64 s[4:5], s[4:5]
	v_mul_u32_u24_e32 v3, 0x3fd, v3
	v_lshlrev_b32_e32 v100, 4, v3
	s_xor_b64 exec, exec, s[4:5]
	s_cbranch_execz .LBB0_12
; %bb.11:
	s_add_u32 s6, s16, s6
	s_addc_u32 s7, s17, s7
	s_load_dwordx2 s[6:7], s[6:7], 0x0
	s_mov_b32 s14, 0x3c3c3c4
	v_mul_hi_u32 v5, v0, s14
	s_waitcnt lgkmcnt(0)
	v_mul_lo_u32 v6, s7, v92
	v_mul_lo_u32 v7, s6, v93
	v_mad_u64_u32 v[3:4], s[6:7], s6, v92, 0
	v_mul_u32_u24_e32 v5, 0x44, v5
	v_sub_u32_e32 v90, v0, v5
	v_add3_u32 v4, v4, v7, v6
	v_lshlrev_b64 v[3:4], 4, v[3:4]
	v_mov_b32_e32 v0, s9
	v_add_co_u32_e32 v3, vcc, s8, v3
	v_addc_co_u32_e32 v4, vcc, v0, v4, vcc
	v_lshlrev_b64 v[0:1], 4, v[1:2]
	v_lshlrev_b32_e32 v64, 4, v90
	v_add_co_u32_e32 v0, vcc, v3, v0
	v_addc_co_u32_e32 v1, vcc, v4, v1, vcc
	v_add_co_u32_e32 v39, vcc, v0, v64
	v_addc_co_u32_e32 v40, vcc, 0, v1, vcc
	s_movk_i32 s6, 0x1000
	v_add_co_u32_e32 v32, vcc, s6, v39
	v_addc_co_u32_e32 v33, vcc, 0, v40, vcc
	s_movk_i32 s6, 0x2000
	v_add_co_u32_e32 v60, vcc, s6, v39
	v_addc_co_u32_e32 v61, vcc, 0, v40, vcc
	v_add_co_u32_e32 v62, vcc, 0x3000, v39
	global_load_dwordx4 v[0:3], v[39:40], off
	global_load_dwordx4 v[4:7], v[39:40], off offset:1088
	global_load_dwordx4 v[8:11], v[39:40], off offset:2176
	;; [unrolled: 1-line block ×7, first 2 shown]
	s_nop 0
	global_load_dwordx4 v[32:35], v[60:61], off offset:512
	global_load_dwordx4 v[36:39], v[60:61], off offset:1600
	v_addc_co_u32_e32 v63, vcc, 0, v40, vcc
	global_load_dwordx4 v[40:43], v[60:61], off offset:2688
	global_load_dwordx4 v[44:47], v[60:61], off offset:3776
	;; [unrolled: 1-line block ×5, first 2 shown]
	v_add_u32_e32 v94, 0x44, v90
	v_add_u32_e32 v105, 0x88, v90
	;; [unrolled: 1-line block ×6, first 2 shown]
	v_add3_u32 v60, 0, v100, v64
	v_add_u32_e32 v96, 0x1dc, v90
	s_waitcnt vmcnt(14)
	ds_write_b128 v60, v[0:3]
	s_waitcnt vmcnt(13)
	ds_write_b128 v60, v[4:7] offset:1088
	s_waitcnt vmcnt(12)
	ds_write_b128 v60, v[8:11] offset:2176
	s_waitcnt vmcnt(11)
	ds_write_b128 v60, v[12:15] offset:3264
	s_waitcnt vmcnt(10)
	ds_write_b128 v60, v[16:19] offset:4352
	s_waitcnt vmcnt(9)
	ds_write_b128 v60, v[20:23] offset:5440
	s_waitcnt vmcnt(8)
	ds_write_b128 v60, v[24:27] offset:6528
	s_waitcnt vmcnt(7)
	ds_write_b128 v60, v[28:31] offset:7616
	s_waitcnt vmcnt(6)
	ds_write_b128 v60, v[32:35] offset:8704
	s_waitcnt vmcnt(5)
	ds_write_b128 v60, v[36:39] offset:9792
	s_waitcnt vmcnt(4)
	ds_write_b128 v60, v[40:43] offset:10880
	s_waitcnt vmcnt(3)
	ds_write_b128 v60, v[44:47] offset:11968
	s_waitcnt vmcnt(2)
	ds_write_b128 v60, v[48:51] offset:13056
	s_waitcnt vmcnt(1)
	ds_write_b128 v60, v[52:55] offset:14144
	s_waitcnt vmcnt(0)
	ds_write_b128 v60, v[56:59] offset:15232
.LBB0_12:
	s_or_b64 exec, exec, s[4:5]
	v_lshlrev_b32_e32 v91, 4, v90
	v_add_u32_e32 v170, 0, v100
	v_add3_u32 v95, 0, v91, v100
	s_load_dwordx2 s[4:5], s[2:3], 0x0
	s_waitcnt lgkmcnt(0)
	s_barrier
	v_add_u32_e32 v98, v170, v91
	ds_read_b128 v[0:3], v95 offset:8160
	ds_read_b128 v[8:11], v98
	ds_read_b128 v[16:19], v95 offset:1088
	ds_read_b128 v[12:15], v95 offset:9248
	v_cmp_gt_u32_e32 vcc, 34, v90
	s_waitcnt lgkmcnt(2)
	v_add_f64 v[4:5], v[8:9], -v[0:1]
	v_add_f64 v[6:7], v[10:11], -v[2:3]
	ds_read_b128 v[0:3], v95 offset:10336
	ds_read_b128 v[24:27], v95 offset:2176
	;; [unrolled: 1-line block ×4, first 2 shown]
	s_waitcnt lgkmcnt(4)
	v_add_f64 v[12:13], v[16:17], -v[12:13]
	v_add_f64 v[14:15], v[18:19], -v[14:15]
	s_waitcnt lgkmcnt(2)
	v_add_f64 v[20:21], v[24:25], -v[0:1]
	v_add_f64 v[22:23], v[26:27], -v[2:3]
	s_waitcnt lgkmcnt(0)
	v_add_f64 v[32:33], v[36:37], -v[28:29]
	v_fma_f64 v[0:1], v[8:9], 2.0, -v[4:5]
	v_fma_f64 v[2:3], v[10:11], 2.0, -v[6:7]
	ds_read_b128 v[8:11], v95 offset:12512
	ds_read_b128 v[44:47], v95 offset:4352
	;; [unrolled: 1-line block ×4, first 2 shown]
	v_add_f64 v[34:35], v[38:39], -v[30:31]
	v_fma_f64 v[28:29], v[24:25], 2.0, -v[20:21]
	v_fma_f64 v[30:31], v[26:27], 2.0, -v[22:23]
	s_waitcnt lgkmcnt(2)
	v_add_f64 v[24:25], v[44:45], -v[8:9]
	v_add_f64 v[26:27], v[46:47], -v[10:11]
	ds_read_b128 v[8:11], v95 offset:14688
	ds_read_b128 v[56:59], v95 offset:6528
	ds_read_b128 v[64:67], v95 offset:7616
	ds_read_b128 v[60:63], v95 offset:15776
	s_waitcnt lgkmcnt(4)
	v_add_f64 v[40:41], v[48:49], -v[40:41]
	v_add_f64 v[42:43], v[50:51], -v[42:43]
	s_waitcnt lgkmcnt(2)
	v_add_f64 v[52:53], v[56:57], -v[8:9]
	v_add_f64 v[54:55], v[58:59], -v[10:11]
	;; [unrolled: 3-line block ×3, first 2 shown]
	v_fma_f64 v[16:17], v[16:17], 2.0, -v[12:13]
	v_fma_f64 v[18:19], v[18:19], 2.0, -v[14:15]
	;; [unrolled: 1-line block ×12, first 2 shown]
	v_lshl_add_u32 v64, v90, 5, v170
	s_barrier
	ds_write_b128 v64, v[0:3]
	ds_write_b128 v64, v[4:7] offset:16
	v_lshl_add_u32 v64, v94, 5, v170
	ds_write_b128 v64, v[16:19]
	ds_write_b128 v64, v[12:15] offset:16
	v_lshl_add_u32 v64, v105, 5, v170
	ds_write_b128 v64, v[28:31]
	ds_write_b128 v64, v[20:23] offset:16
	v_lshl_add_u32 v64, v103, 5, v170
	ds_write_b128 v64, v[36:39]
	ds_write_b128 v64, v[32:35] offset:16
	v_lshl_add_u32 v64, v101, 5, v170
	ds_write_b128 v64, v[44:47]
	ds_write_b128 v64, v[24:27] offset:16
	v_lshl_add_u32 v64, v99, 5, v170
	ds_write_b128 v64, v[8:11]
	ds_write_b128 v64, v[40:43] offset:16
	v_lshl_add_u32 v64, v97, 5, v170
	ds_write_b128 v64, v[48:51]
	ds_write_b128 v64, v[52:55] offset:16
	s_and_saveexec_b64 s[2:3], vcc
	s_cbranch_execz .LBB0_14
; %bb.13:
	v_lshlrev_b32_e32 v64, 5, v96
	v_add3_u32 v64, 0, v64, v100
	ds_write_b128 v64, v[56:59]
	ds_write_b128 v64, v[60:63] offset:16
.LBB0_14:
	s_or_b64 exec, exec, s[2:3]
	v_cmp_gt_u32_e64 s[2:3], 60, v90
	s_waitcnt lgkmcnt(0)
	s_barrier
	s_waitcnt lgkmcnt(0)
                                        ; implicit-def: $vgpr66_vgpr67
	s_and_saveexec_b64 s[6:7], s[2:3]
	s_cbranch_execz .LBB0_16
; %bb.15:
	ds_read_b128 v[0:3], v98
	ds_read_b128 v[4:7], v95 offset:960
	ds_read_b128 v[16:19], v95 offset:1920
	;; [unrolled: 1-line block ×16, first 2 shown]
.LBB0_16:
	s_or_b64 exec, exec, s[6:7]
	v_and_b32_e32 v102, 1, v90
	v_lshlrev_b32_e32 v104, 8, v102
	global_load_dwordx4 v[84:87], v104, s[12:13]
	global_load_dwordx4 v[80:83], v104, s[12:13] offset:16
	global_load_dwordx4 v[76:79], v104, s[12:13] offset:32
	;; [unrolled: 1-line block ×15, first 2 shown]
	s_mov_b32 s14, 0x75d4884
	s_mov_b32 s16, 0x2a9d6da3
	s_mov_b32 s15, 0x3fe7a5f6
	s_mov_b32 s17, 0xbfe58eea
	s_mov_b32 s8, 0x3259b75e
	s_mov_b32 s18, 0xeb564b22
	s_mov_b32 s9, 0x3fb79ee6
	s_mov_b32 s19, 0xbfefdd0d
	s_mov_b32 s6, 0x6ed5f1bb
	s_mov_b32 s20, 0x6c9a05f6
	s_mov_b32 s7, 0xbfe348c8
	s_mov_b32 s21, 0xbfe9895b
	s_mov_b32 s42, 0xacd6c6b4
	s_mov_b32 s22, 0x7faef3
	s_mov_b32 s43, 0x3fc7851a
	s_mov_b32 s27, 0xbfc7851a
	s_mov_b32 s23, 0xbfef7484
	s_mov_b32 s26, s42
	s_mov_b32 s24, 0x910ea3b9
	s_mov_b32 s25, 0xbfeb34fa
	s_mov_b32 s46, 0x4363dd80
	s_mov_b32 s30, 0x7c9e640b
	s_mov_b32 s36, 0x2b2883cd
	s_mov_b32 s47, 0x3fe0d888
	s_mov_b32 s31, 0xbfeca52d
	s_mov_b32 s37, 0x3fdc86fa
	s_mov_b32 s28, 0xc61f0d01
	s_mov_b32 s48, 0x923c349f
	s_mov_b32 s29, 0xbfd183b1
	s_mov_b32 s49, 0x3feec746
	s_mov_b32 s55, 0x3fe58eea
	s_mov_b32 s54, s16
	s_mov_b32 s38, 0x370991
	s_mov_b32 s40, 0x5d8e7cdc
	s_mov_b32 s39, 0x3fedd6d0
	s_mov_b32 s41, 0xbfd71e95
	s_mov_b32 s51, 0x3feca52d
	s_mov_b32 s50, s30
	s_mov_b32 s53, 0x3fd71e95
	s_mov_b32 s52, s40
	s_mov_b32 s45, 0xbfe0d888
	s_mov_b32 s44, s46
	s_waitcnt vmcnt(0) lgkmcnt(0)
	s_barrier
	v_mul_f64 v[118:119], v[6:7], v[86:87]
	v_mul_f64 v[86:87], v[4:5], v[86:87]
	;; [unrolled: 1-line block ×20, first 2 shown]
	v_fma_f64 v[156:157], v[6:7], v[84:85], -v[86:87]
	v_fma_f64 v[66:67], v[66:67], v[130:131], -v[183:184]
	v_mul_f64 v[158:159], v[22:23], v[108:109]
	v_mul_f64 v[108:109], v[20:21], v[108:109]
	;; [unrolled: 1-line block ×12, first 2 shown]
	v_fma_f64 v[148:149], v[4:5], v[84:85], v[118:119]
	v_fma_f64 v[142:143], v[16:17], v[80:81], v[128:129]
	v_fma_f64 v[144:145], v[18:19], v[80:81], -v[82:83]
	v_fma_f64 v[134:135], v[12:13], v[76:77], v[134:135]
	v_fma_f64 v[136:137], v[14:15], v[76:77], -v[78:79]
	v_fma_f64 v[132:133], v[30:31], v[72:73], -v[74:75]
	v_fma_f64 v[78:79], v[32:33], v[114:115], v[166:167]
	v_fma_f64 v[80:81], v[34:35], v[114:115], -v[116:117]
	v_fma_f64 v[74:75], v[44:45], v[120:121], v[168:169]
	v_fma_f64 v[76:77], v[46:47], v[120:121], -v[171:172]
	v_fma_f64 v[70:71], v[50:51], v[140:141], -v[70:71]
	v_fma_f64 v[50:51], v[64:65], v[130:131], v[189:190]
	v_fma_f64 v[64:65], v[52:53], v[124:125], v[181:182]
	v_fma_f64 v[52:53], v[62:63], v[154:155], -v[191:192]
	v_add_f64 v[120:121], v[156:157], -v[66:67]
	v_add_f64 v[114:115], v[156:157], v[66:67]
	v_fma_f64 v[118:119], v[20:21], v[106:107], v[158:159]
	v_fma_f64 v[122:123], v[22:23], v[106:107], -v[108:109]
	v_fma_f64 v[86:87], v[36:37], v[110:111], v[164:165]
	v_fma_f64 v[112:113], v[38:39], v[110:111], -v[112:113]
	v_fma_f64 v[62:63], v[54:55], v[124:125], -v[126:127]
	v_fma_f64 v[54:55], v[60:61], v[154:155], v[193:194]
	v_fma_f64 v[58:59], v[58:59], v[146:147], -v[187:188]
	v_add_f64 v[106:107], v[148:149], v[50:51]
	v_add_f64 v[124:125], v[144:145], -v[52:53]
	v_add_f64 v[212:213], v[148:149], -v[50:51]
	v_add_f64 v[110:111], v[144:145], v[52:53]
	v_mul_f64 v[32:33], v[120:121], s[16:17]
	v_mul_f64 v[38:39], v[114:115], s[14:15]
	v_fma_f64 v[56:57], v[56:57], v[146:147], v[185:186]
	v_add_f64 v[108:109], v[142:143], v[54:55]
	v_add_f64 v[184:185], v[142:143], -v[54:55]
	v_add_f64 v[130:131], v[136:137], -v[58:59]
	v_add_f64 v[82:83], v[136:137], v[58:59]
	v_mul_f64 v[30:31], v[124:125], s[18:19]
	v_mul_f64 v[36:37], v[110:111], s[8:9]
	v_fma_f64 v[4:5], v[106:107], s[14:15], -v[32:33]
	v_fma_f64 v[6:7], v[212:213], s[16:17], v[38:39]
	v_fma_f64 v[128:129], v[28:29], v[72:73], v[138:139]
	v_add_f64 v[60:61], v[134:135], v[56:57]
	v_add_f64 v[182:183], v[134:135], -v[56:57]
	v_add_f64 v[138:139], v[132:133], -v[62:63]
	v_add_f64 v[84:85], v[132:133], v[62:63]
	v_mul_f64 v[28:29], v[130:131], s[20:21]
	v_mul_f64 v[34:35], v[82:83], s[6:7]
	v_fma_f64 v[12:13], v[108:109], s[8:9], -v[30:31]
	v_fma_f64 v[14:15], v[184:185], s[18:19], v[36:37]
	v_add_f64 v[4:5], v[0:1], v[4:5]
	v_add_f64 v[6:7], v[2:3], v[6:7]
	;; [unrolled: 1-line block ×3, first 2 shown]
	v_add_f64 v[166:167], v[128:129], -v[64:65]
	v_mul_f64 v[22:23], v[138:139], s[26:27]
	v_mul_f64 v[44:45], v[84:85], s[22:23]
	v_fma_f64 v[16:17], v[60:61], s[6:7], -v[28:29]
	v_fma_f64 v[18:19], v[182:183], s[20:21], v[34:35]
	v_add_f64 v[4:5], v[12:13], v[4:5]
	v_add_f64 v[6:7], v[14:15], v[6:7]
	v_fma_f64 v[48:49], v[48:49], v[140:141], v[162:163]
	v_add_f64 v[140:141], v[122:123], v[70:71]
	v_fma_f64 v[72:73], v[24:25], v[150:151], v[173:174]
	v_fma_f64 v[126:127], v[42:43], v[160:161], -v[152:153]
	v_fma_f64 v[14:15], v[116:117], s[22:23], -v[22:23]
	v_fma_f64 v[20:21], v[166:167], s[26:27], v[44:45]
	v_add_f64 v[4:5], v[16:17], v[4:5]
	v_add_f64 v[6:7], v[18:19], v[6:7]
	v_add_f64 v[172:173], v[118:119], -v[48:49]
	v_mul_f64 v[42:43], v[140:141], s[24:25]
	v_mul_f64 v[226:227], v[120:121], s[30:31]
	;; [unrolled: 1-line block ×5, first 2 shown]
	v_add_f64 v[4:5], v[14:15], v[4:5]
	v_add_f64 v[6:7], v[20:21], v[6:7]
	v_mul_f64 v[240:241], v[130:131], s[42:43]
	v_fma_f64 v[14:15], v[172:173], s[46:47], v[42:43]
	v_mul_f64 v[164:165], v[82:83], s[22:23]
	v_fma_f64 v[16:17], v[212:213], s[30:31], v[246:247]
	v_fma_f64 v[18:19], v[108:109], s[6:7], -v[228:229]
	v_fma_f64 v[20:21], v[184:185], s[20:21], v[254:255]
	v_add_f64 v[152:153], v[122:123], -v[70:71]
	v_mul_f64 v[236:237], v[138:139], s[48:49]
	v_mul_f64 v[248:249], v[84:85], s[28:29]
	v_add_f64 v[6:7], v[14:15], v[6:7]
	v_fma_f64 v[14:15], v[106:107], s[36:37], -v[226:227]
	v_add_f64 v[16:17], v[2:3], v[16:17]
	v_add_f64 v[146:147], v[118:119], v[48:49]
	v_fma_f64 v[158:159], v[26:27], v[150:151], -v[175:176]
	v_mul_f64 v[12:13], v[152:153], s[46:47]
	v_fma_f64 v[150:151], v[40:41], v[160:161], v[200:201]
	v_add_f64 v[168:169], v[112:113], -v[126:127]
	v_add_f64 v[160:161], v[112:113], v[126:127]
	v_add_f64 v[14:15], v[0:1], v[14:15]
	;; [unrolled: 1-line block ×3, first 2 shown]
	v_fma_f64 v[20:21], v[182:183], s[42:43], v[164:165]
	v_fma_f64 v[180:181], v[10:11], v[68:69], -v[179:180]
	v_mul_f64 v[238:239], v[152:153], s[54:55]
	v_mul_f64 v[250:251], v[140:141], s[14:15]
	v_fma_f64 v[154:155], v[8:9], v[68:69], v[177:178]
	v_fma_f64 v[8:9], v[146:147], s[24:25], -v[12:13]
	v_add_f64 v[14:15], v[18:19], v[14:15]
	v_fma_f64 v[18:19], v[60:61], s[22:23], -v[240:241]
	v_add_f64 v[16:17], v[20:21], v[16:17]
	v_fma_f64 v[20:21], v[166:167], s[48:49], v[248:249]
	v_add_f64 v[162:163], v[86:87], v[150:151]
	v_mul_f64 v[24:25], v[168:169], s[48:49]
	v_add_f64 v[176:177], v[86:87], -v[150:151]
	v_mul_f64 v[40:41], v[160:161], s[28:29]
	v_add_f64 v[204:205], v[80:81], -v[180:181]
	v_add_f64 v[14:15], v[18:19], v[14:15]
	v_fma_f64 v[18:19], v[116:117], s[28:29], -v[236:237]
	v_add_f64 v[68:69], v[80:81], v[180:181]
	v_add_f64 v[16:17], v[20:21], v[16:17]
	v_fma_f64 v[20:21], v[172:173], s[54:55], v[250:251]
	v_mul_f64 v[234:235], v[168:169], s[40:41]
	v_mul_f64 v[242:243], v[160:161], s[38:39]
	v_add_f64 v[4:5], v[8:9], v[4:5]
	v_fma_f64 v[8:9], v[162:163], s[28:29], -v[24:25]
	v_add_f64 v[14:15], v[18:19], v[14:15]
	v_fma_f64 v[18:19], v[146:147], s[14:15], -v[238:239]
	v_fma_f64 v[10:11], v[176:177], s[48:49], v[40:41]
	v_add_f64 v[178:179], v[78:79], v[154:155]
	v_mul_f64 v[26:27], v[204:205], s[50:51]
	v_add_f64 v[210:211], v[78:79], -v[154:155]
	v_mul_f64 v[224:225], v[68:69], s[36:37]
	v_add_f64 v[214:215], v[76:77], -v[158:159]
	v_add_f64 v[200:201], v[76:77], v[158:159]
	v_add_f64 v[14:15], v[18:19], v[14:15]
	;; [unrolled: 1-line block ×3, first 2 shown]
	v_fma_f64 v[18:19], v[162:163], s[38:39], -v[234:235]
	v_fma_f64 v[20:21], v[176:177], s[40:41], v[242:243]
	v_mul_f64 v[230:231], v[204:205], s[18:19]
	v_mul_f64 v[244:245], v[68:69], s[8:9]
	v_add_f64 v[4:5], v[8:9], v[4:5]
	v_add_f64 v[6:7], v[10:11], v[6:7]
	v_fma_f64 v[8:9], v[178:179], s[36:37], -v[26:27]
	v_fma_f64 v[10:11], v[210:211], s[50:51], v[224:225]
	v_add_f64 v[202:203], v[74:75], v[72:73]
	v_mul_f64 v[46:47], v[214:215], s[52:53]
	v_add_f64 v[222:223], v[74:75], -v[72:73]
	v_mul_f64 v[174:175], v[200:201], s[38:39]
	v_add_f64 v[14:15], v[18:19], v[14:15]
	v_add_f64 v[16:17], v[20:21], v[16:17]
	v_fma_f64 v[18:19], v[178:179], s[8:9], -v[230:231]
	v_fma_f64 v[20:21], v[210:211], s[18:19], v[244:245]
	v_mul_f64 v[232:233], v[214:215], s[44:45]
	v_mul_f64 v[252:253], v[200:201], s[24:25]
	v_add_f64 v[4:5], v[8:9], v[4:5]
	v_add_f64 v[6:7], v[10:11], v[6:7]
	v_fma_f64 v[8:9], v[202:203], s[38:39], -v[46:47]
	v_fma_f64 v[10:11], v[222:223], s[52:53], v[174:175]
	v_add_f64 v[14:15], v[18:19], v[14:15]
	v_add_f64 v[16:17], v[20:21], v[16:17]
	v_fma_f64 v[18:19], v[202:203], s[24:25], -v[232:233]
	v_fma_f64 v[20:21], v[222:223], s[44:45], v[252:253]
	v_add_f64 v[8:9], v[8:9], v[4:5]
	v_add_f64 v[10:11], v[10:11], v[6:7]
	;; [unrolled: 1-line block ×4, first 2 shown]
	s_and_saveexec_b64 s[34:35], s[2:3]
	s_cbranch_execz .LBB0_18
; %bb.17:
	v_mul_f64 v[14:15], v[212:213], s[26:27]
	v_mul_f64 v[16:17], v[120:121], s[26:27]
	buffer_store_dword v22, off, s[60:63], 0 offset:48 ; 4-byte Folded Spill
	s_nop 0
	buffer_store_dword v23, off, s[60:63], 0 offset:52 ; 4-byte Folded Spill
	buffer_store_dword v24, off, s[60:63], 0 offset:8 ; 4-byte Folded Spill
	s_nop 0
	buffer_store_dword v25, off, s[60:63], 0 offset:12 ; 4-byte Folded Spill
	buffer_store_dword v26, off, s[60:63], 0 ; 4-byte Folded Spill
	s_nop 0
	buffer_store_dword v27, off, s[60:63], 0 offset:4 ; 4-byte Folded Spill
	buffer_store_dword v28, off, s[60:63], 0 offset:80 ; 4-byte Folded Spill
	s_nop 0
	buffer_store_dword v29, off, s[60:63], 0 offset:84 ; 4-byte Folded Spill
	buffer_store_dword v30, off, s[60:63], 0 offset:96 ; 4-byte Folded Spill
	;; [unrolled: 3-line block ×3, first 2 shown]
	s_nop 0
	buffer_store_dword v33, off, s[60:63], 0 offset:116 ; 4-byte Folded Spill
	v_mul_f64 v[20:21], v[184:185], s[52:53]
	v_fma_f64 v[22:23], v[114:115], s[22:23], v[14:15]
	v_mul_f64 v[30:31], v[124:125], s[52:53]
	v_fma_f64 v[32:33], v[106:107], s[22:23], -v[16:17]
	buffer_store_dword v34, off, s[60:63], 0 offset:88 ; 4-byte Folded Spill
	s_nop 0
	buffer_store_dword v35, off, s[60:63], 0 offset:92 ; 4-byte Folded Spill
	buffer_store_dword v36, off, s[60:63], 0 offset:104 ; 4-byte Folded Spill
	s_nop 0
	buffer_store_dword v37, off, s[60:63], 0 offset:108 ; 4-byte Folded Spill
	;; [unrolled: 3-line block ×6, first 2 shown]
	v_mul_f64 v[28:29], v[182:183], s[44:45]
	v_fma_f64 v[36:37], v[110:111], s[38:39], v[20:21]
	v_add_f64 v[22:23], v[2:3], v[22:23]
	v_mul_f64 v[42:43], v[130:131], s[44:45]
	v_fma_f64 v[44:45], v[108:109], s[38:39], -v[30:31]
	v_add_f64 v[32:33], v[0:1], v[32:33]
	buffer_store_dword v46, off, s[60:63], 0 offset:16 ; 4-byte Folded Spill
	s_nop 0
	buffer_store_dword v47, off, s[60:63], 0 offset:20 ; 4-byte Folded Spill
	buffer_store_dword v12, off, s[60:63], 0 offset:56 ; 4-byte Folded Spill
	s_nop 0
	buffer_store_dword v13, off, s[60:63], 0 offset:60 ; 4-byte Folded Spill
	v_mul_f64 v[26:27], v[166:167], s[54:55]
	v_mul_f64 v[40:41], v[138:139], s[54:55]
	v_fma_f64 v[12:13], v[82:83], s[24:25], v[28:29]
	v_add_f64 v[22:23], v[36:37], v[22:23]
	v_fma_f64 v[186:187], v[60:61], s[24:25], -v[42:43]
	v_fma_f64 v[14:15], v[114:115], s[22:23], -v[14:15]
	v_add_f64 v[32:33], v[44:45], v[32:33]
	v_mul_f64 v[24:25], v[172:173], s[20:21]
	v_mul_f64 v[38:39], v[152:153], s[20:21]
	v_fma_f64 v[188:189], v[84:85], s[14:15], v[26:27]
	v_fma_f64 v[16:17], v[106:107], s[22:23], v[16:17]
	v_add_f64 v[12:13], v[12:13], v[22:23]
	v_fma_f64 v[22:23], v[116:117], s[14:15], -v[40:41]
	v_fma_f64 v[20:21], v[110:111], s[38:39], -v[20:21]
	v_add_f64 v[14:15], v[2:3], v[14:15]
	v_add_f64 v[32:33], v[186:187], v[32:33]
	v_mul_f64 v[18:19], v[176:177], s[50:51]
	v_mul_f64 v[34:35], v[168:169], s[50:51]
	v_fma_f64 v[186:187], v[140:141], s[6:7], v[24:25]
	v_fma_f64 v[30:31], v[108:109], s[38:39], v[30:31]
	v_add_f64 v[12:13], v[188:189], v[12:13]
	v_add_f64 v[16:17], v[0:1], v[16:17]
	v_fma_f64 v[188:189], v[146:147], s[6:7], -v[38:39]
	v_add_f64 v[14:15], v[20:21], v[14:15]
	v_add_f64 v[20:21], v[22:23], v[32:33]
	s_mov_b32 s3, 0xbfeec746
	s_mov_b32 s2, s48
	v_mul_f64 v[36:37], v[210:211], s[2:3]
	v_mul_f64 v[44:45], v[204:205], s[2:3]
	v_fma_f64 v[28:29], v[82:83], s[24:25], -v[28:29]
	v_fma_f64 v[22:23], v[160:161], s[36:37], v[18:19]
	v_fma_f64 v[32:33], v[60:61], s[24:25], v[42:43]
	v_add_f64 v[12:13], v[186:187], v[12:13]
	v_add_f64 v[16:17], v[30:31], v[16:17]
	v_fma_f64 v[30:31], v[162:163], s[36:37], -v[34:35]
	v_add_f64 v[20:21], v[188:189], v[20:21]
	s_mov_b32 s57, 0x3fefdd0d
	s_mov_b32 s56, s18
	buffer_store_dword v174, off, s[60:63], 0 offset:24 ; 4-byte Folded Spill
	s_nop 0
	buffer_store_dword v175, off, s[60:63], 0 offset:28 ; 4-byte Folded Spill
	v_mul_f64 v[46:47], v[222:223], s[56:57]
	v_mul_f64 v[174:175], v[214:215], s[56:57]
	v_add_f64 v[14:15], v[28:29], v[14:15]
	v_fma_f64 v[28:29], v[116:117], s[14:15], v[40:41]
	v_fma_f64 v[40:41], v[68:69], s[28:29], v[36:37]
	v_add_f64 v[12:13], v[22:23], v[12:13]
	v_add_f64 v[16:17], v[32:33], v[16:17]
	v_fma_f64 v[22:23], v[140:141], s[6:7], -v[24:25]
	v_fma_f64 v[24:25], v[178:179], s[28:29], -v[44:45]
	v_add_f64 v[20:21], v[30:31], v[20:21]
	v_fma_f64 v[26:27], v[84:85], s[14:15], -v[26:27]
	v_fma_f64 v[30:31], v[200:201], s[8:9], v[46:47]
	v_fma_f64 v[18:19], v[160:161], s[36:37], -v[18:19]
	v_add_f64 v[12:13], v[40:41], v[12:13]
	v_add_f64 v[16:17], v[28:29], v[16:17]
	v_fma_f64 v[28:29], v[202:203], s[8:9], -v[174:175]
	s_mov_b32 s59, 0x3fe9895b
	v_add_f64 v[20:21], v[24:25], v[20:21]
	v_add_f64 v[14:15], v[26:27], v[14:15]
	v_fma_f64 v[26:27], v[146:147], s[6:7], v[38:39]
	v_mul_f64 v[24:25], v[212:213], s[44:45]
	v_add_f64 v[30:31], v[30:31], v[12:13]
	v_fma_f64 v[12:13], v[68:69], s[28:29], -v[36:37]
	s_mov_b32 s58, s20
	v_mul_f64 v[36:37], v[166:167], s[58:59]
	v_add_f64 v[28:29], v[28:29], v[20:21]
	v_add_f64 v[14:15], v[22:23], v[14:15]
	v_fma_f64 v[22:23], v[162:163], s[36:37], v[34:35]
	v_add_f64 v[16:17], v[26:27], v[16:17]
	buffer_store_dword v28, off, s[60:63], 0 offset:32 ; 4-byte Folded Spill
	s_nop 0
	buffer_store_dword v29, off, s[60:63], 0 offset:36 ; 4-byte Folded Spill
	buffer_store_dword v30, off, s[60:63], 0 offset:40 ; 4-byte Folded Spill
	;; [unrolled: 1-line block ×3, first 2 shown]
	v_add_f64 v[14:15], v[18:19], v[14:15]
	v_fma_f64 v[18:19], v[178:179], s[28:29], v[44:45]
	v_mul_f64 v[20:21], v[184:185], s[50:51]
	v_fma_f64 v[26:27], v[114:115], s[24:25], v[24:25]
	v_add_f64 v[16:17], v[22:23], v[16:17]
	v_mul_f64 v[28:29], v[120:121], s[44:45]
	v_mul_f64 v[30:31], v[182:183], s[18:19]
	;; [unrolled: 1-line block ×3, first 2 shown]
	v_fma_f64 v[22:23], v[200:201], s[8:9], -v[46:47]
	v_add_f64 v[12:13], v[12:13], v[14:15]
	v_fma_f64 v[32:33], v[110:111], s[36:37], v[20:21]
	v_add_f64 v[26:27], v[2:3], v[26:27]
	v_add_f64 v[16:17], v[18:19], v[16:17]
	v_fma_f64 v[18:19], v[106:107], s[24:25], -v[28:29]
	v_fma_f64 v[14:15], v[202:203], s[8:9], v[174:175]
	v_fma_f64 v[38:39], v[82:83], s[8:9], v[30:31]
	v_fma_f64 v[40:41], v[108:109], s[36:37], -v[34:35]
	v_mul_f64 v[44:45], v[176:177], s[26:27]
	v_fma_f64 v[24:25], v[114:115], s[24:25], -v[24:25]
	v_add_f64 v[26:27], v[32:33], v[26:27]
	v_mul_f64 v[32:33], v[130:131], s[18:19]
	v_add_f64 v[42:43], v[0:1], v[18:19]
	v_add_f64 v[18:19], v[22:23], v[12:13]
	;; [unrolled: 1-line block ×3, first 2 shown]
	v_mul_f64 v[12:13], v[172:173], s[40:41]
	v_fma_f64 v[14:15], v[84:85], s[6:7], v[36:37]
	v_mul_f64 v[174:175], v[210:211], s[54:55]
	v_add_f64 v[22:23], v[38:39], v[26:27]
	v_mul_f64 v[26:27], v[138:139], s[58:59]
	v_fma_f64 v[38:39], v[60:61], s[8:9], -v[32:33]
	v_add_f64 v[40:41], v[40:41], v[42:43]
	v_fma_f64 v[20:21], v[110:111], s[36:37], -v[20:21]
	v_fma_f64 v[46:47], v[140:141], s[38:39], v[12:13]
	v_add_f64 v[24:25], v[2:3], v[24:25]
	v_fma_f64 v[186:187], v[160:161], s[22:23], v[44:45]
	v_add_f64 v[14:15], v[14:15], v[22:23]
	v_fma_f64 v[22:23], v[116:117], s[6:7], -v[26:27]
	v_fma_f64 v[28:29], v[106:107], s[24:25], v[28:29]
	v_add_f64 v[38:39], v[38:39], v[40:41]
	v_mul_f64 v[40:41], v[152:153], s[40:41]
	v_fma_f64 v[30:31], v[82:83], s[8:9], -v[30:31]
	v_add_f64 v[20:21], v[20:21], v[24:25]
	v_fma_f64 v[24:25], v[68:69], s[14:15], v[174:175]
	v_add_f64 v[14:15], v[46:47], v[14:15]
	v_mul_f64 v[46:47], v[168:169], s[26:27]
	v_fma_f64 v[34:35], v[108:109], s[36:37], v[34:35]
	v_add_f64 v[22:23], v[22:23], v[38:39]
	v_fma_f64 v[38:39], v[146:147], s[38:39], -v[40:41]
	v_add_f64 v[28:29], v[0:1], v[28:29]
	v_add_f64 v[20:21], v[30:31], v[20:21]
	v_mul_f64 v[30:31], v[204:205], s[54:55]
	v_add_f64 v[14:15], v[186:187], v[14:15]
	v_fma_f64 v[186:187], v[162:163], s[22:23], -v[46:47]
	v_fma_f64 v[36:37], v[84:85], s[6:7], -v[36:37]
	v_fma_f64 v[32:33], v[60:61], s[8:9], v[32:33]
	v_add_f64 v[22:23], v[38:39], v[22:23]
	v_mul_f64 v[38:39], v[212:213], s[20:21]
	v_add_f64 v[28:29], v[34:35], v[28:29]
	v_mul_f64 v[34:35], v[184:185], s[48:49]
	;; [unrolled: 2-line block ×3, first 2 shown]
	v_add_f64 v[20:21], v[36:37], v[20:21]
	v_fma_f64 v[26:27], v[116:117], s[6:7], v[26:27]
	v_add_f64 v[22:23], v[186:187], v[22:23]
	v_fma_f64 v[24:25], v[114:115], s[6:7], v[38:39]
	v_fma_f64 v[186:187], v[178:179], s[14:15], -v[30:31]
	v_add_f64 v[28:29], v[32:33], v[28:29]
	v_mul_f64 v[32:33], v[182:183], s[40:41]
	v_fma_f64 v[36:37], v[110:111], s[28:29], v[34:35]
	v_fma_f64 v[12:13], v[140:141], s[38:39], -v[12:13]
	v_fma_f64 v[40:41], v[146:147], s[38:39], v[40:41]
	v_fma_f64 v[44:45], v[160:161], s[22:23], -v[44:45]
	v_add_f64 v[24:25], v[2:3], v[24:25]
	v_add_f64 v[186:187], v[186:187], v[22:23]
	v_fma_f64 v[22:23], v[200:201], s[28:29], v[42:43]
	v_add_f64 v[26:27], v[26:27], v[28:29]
	v_fma_f64 v[28:29], v[82:83], s[38:39], v[32:33]
	v_add_f64 v[12:13], v[12:13], v[20:21]
	v_mul_f64 v[20:21], v[214:215], s[2:3]
	v_fma_f64 v[46:47], v[162:163], s[22:23], v[46:47]
	v_add_f64 v[24:25], v[36:37], v[24:25]
	v_mul_f64 v[36:37], v[166:167], s[44:45]
	v_add_f64 v[22:23], v[22:23], v[14:15]
	v_add_f64 v[26:27], v[40:41], v[26:27]
	v_mul_f64 v[40:41], v[172:173], s[56:57]
	v_fma_f64 v[14:15], v[68:69], s[14:15], -v[174:175]
	v_add_f64 v[12:13], v[44:45], v[12:13]
	v_fma_f64 v[44:45], v[202:203], s[28:29], -v[20:21]
	v_add_f64 v[24:25], v[28:29], v[24:25]
	v_fma_f64 v[28:29], v[84:85], s[24:25], v[36:37]
	v_fma_f64 v[30:31], v[178:179], s[14:15], v[30:31]
	v_add_f64 v[26:27], v[46:47], v[26:27]
	v_fma_f64 v[46:47], v[140:141], s[8:9], v[40:41]
	v_mul_f64 v[174:175], v[176:177], s[16:17]
	v_add_f64 v[12:13], v[14:15], v[12:13]
	v_mul_f64 v[14:15], v[120:121], s[20:21]
	v_mul_f64 v[188:189], v[210:211], s[26:27]
	v_add_f64 v[24:25], v[28:29], v[24:25]
	v_fma_f64 v[28:29], v[200:201], s[28:29], -v[42:43]
	v_fma_f64 v[42:43], v[202:203], s[28:29], v[20:21]
	v_add_f64 v[30:31], v[30:31], v[26:27]
	v_fma_f64 v[190:191], v[160:161], s[14:15], v[174:175]
	v_add_f64 v[20:21], v[44:45], v[186:187]
	v_mul_f64 v[44:45], v[124:125], s[48:49]
	v_fma_f64 v[186:187], v[106:107], s[6:7], -v[14:15]
	v_add_f64 v[46:47], v[46:47], v[24:25]
	v_add_f64 v[26:27], v[28:29], v[12:13]
	v_fma_f64 v[12:13], v[68:69], s[22:23], v[188:189]
	v_add_f64 v[24:25], v[42:43], v[30:31]
	v_mul_f64 v[42:43], v[130:131], s[40:41]
	v_mul_f64 v[192:193], v[204:205], s[26:27]
	v_fma_f64 v[30:31], v[108:109], s[28:29], -v[44:45]
	v_mul_f64 v[194:195], v[222:223], s[50:51]
	v_add_f64 v[28:29], v[190:191], v[46:47]
	v_add_f64 v[46:47], v[0:1], v[186:187]
	v_mul_f64 v[186:187], v[152:153], s[56:57]
	v_mul_f64 v[190:191], v[168:169], s[16:17]
	buffer_store_dword v16, off, s[60:63], 0 offset:64 ; 4-byte Folded Spill
	s_nop 0
	buffer_store_dword v17, off, s[60:63], 0 offset:68 ; 4-byte Folded Spill
	buffer_store_dword v18, off, s[60:63], 0 offset:72 ; 4-byte Folded Spill
	;; [unrolled: 1-line block ×3, first 2 shown]
	v_fma_f64 v[18:19], v[110:111], s[28:29], -v[34:35]
	v_fma_f64 v[14:15], v[106:107], s[6:7], v[14:15]
	v_fma_f64 v[34:35], v[60:61], s[38:39], v[42:43]
	v_add_f64 v[12:13], v[12:13], v[28:29]
	v_fma_f64 v[28:29], v[60:61], s[38:39], -v[42:43]
	v_add_f64 v[30:31], v[30:31], v[46:47]
	v_mul_f64 v[46:47], v[138:139], s[44:45]
	v_fma_f64 v[42:43], v[162:163], s[14:15], v[190:191]
	v_mul_f64 v[196:197], v[130:131], s[48:49]
	v_add_f64 v[14:15], v[0:1], v[14:15]
	v_mul_f64 v[198:199], v[138:139], s[52:53]
	v_mul_f64 v[206:207], v[152:153], s[30:31]
	;; [unrolled: 1-line block ×3, first 2 shown]
	v_add_f64 v[28:29], v[28:29], v[30:31]
	v_fma_f64 v[30:31], v[116:117], s[24:25], -v[46:47]
	v_mul_f64 v[216:217], v[204:205], s[58:59]
	v_mul_f64 v[218:219], v[222:223], s[54:55]
	v_add_f64 v[156:157], v[2:3], v[156:157]
	v_add_f64 v[148:149], v[0:1], v[148:149]
	;; [unrolled: 1-line block ×3, first 2 shown]
	v_fma_f64 v[30:31], v[146:147], s[8:9], -v[186:187]
	v_add_f64 v[144:145], v[156:157], v[144:145]
	v_add_f64 v[142:143], v[148:149], v[142:143]
	v_mul_f64 v[148:149], v[172:173], s[2:3]
	v_add_f64 v[28:29], v[30:31], v[28:29]
	v_fma_f64 v[30:31], v[162:163], s[14:15], -v[190:191]
	v_add_f64 v[136:137], v[144:145], v[136:137]
	v_add_f64 v[134:135], v[142:143], v[134:135]
	v_mul_f64 v[142:143], v[176:177], s[20:21]
	v_fma_f64 v[144:145], v[140:141], s[28:29], v[148:149]
	v_add_f64 v[28:29], v[30:31], v[28:29]
	v_fma_f64 v[30:31], v[178:179], s[22:23], -v[192:193]
	v_add_f64 v[132:133], v[136:137], v[132:133]
	v_fma_f64 v[136:137], v[160:161], s[6:7], v[142:143]
	v_add_f64 v[128:129], v[134:135], v[128:129]
	v_mul_f64 v[134:135], v[210:211], s[44:45]
	v_add_f64 v[28:29], v[30:31], v[28:29]
	v_fma_f64 v[30:31], v[200:201], s[36:37], v[194:195]
	v_add_f64 v[122:123], v[132:133], v[122:123]
	v_add_f64 v[118:119], v[128:129], v[118:119]
	v_fma_f64 v[132:133], v[68:69], s[24:25], v[134:135]
	v_mul_f64 v[128:129], v[222:223], s[26:27]
	v_add_f64 v[30:31], v[30:31], v[12:13]
	v_mul_f64 v[12:13], v[214:215], s[50:51]
	v_add_f64 v[112:113], v[122:123], v[112:113]
	v_add_f64 v[86:87], v[118:119], v[86:87]
	v_fma_f64 v[118:119], v[200:201], s[22:23], v[128:129]
	v_fma_f64 v[16:17], v[202:203], s[36:37], -v[12:13]
	v_fma_f64 v[12:13], v[202:203], s[36:37], v[12:13]
	v_add_f64 v[80:81], v[112:113], v[80:81]
	v_add_f64 v[78:79], v[86:87], v[78:79]
	v_mul_f64 v[86:87], v[120:121], s[40:41]
	v_mul_f64 v[112:113], v[152:153], s[2:3]
	v_add_f64 v[28:29], v[16:17], v[28:29]
	v_fma_f64 v[16:17], v[114:115], s[6:7], -v[38:39]
	v_mul_f64 v[38:39], v[184:185], s[46:47]
	v_add_f64 v[76:77], v[80:81], v[76:77]
	v_add_f64 v[74:75], v[78:79], v[74:75]
	v_fma_f64 v[78:79], v[106:107], s[38:39], v[86:87]
	v_fma_f64 v[80:81], v[106:107], s[38:39], -v[86:87]
	v_add_f64 v[16:17], v[2:3], v[16:17]
	v_add_f64 v[76:77], v[76:77], v[158:159]
	;; [unrolled: 1-line block ×5, first 2 shown]
	v_fma_f64 v[18:19], v[82:83], s[38:39], -v[32:33]
	v_fma_f64 v[32:33], v[160:161], s[14:15], -v[174:175]
	v_add_f64 v[76:77], v[76:77], v[180:181]
	v_add_f64 v[72:73], v[72:73], v[154:155]
	;; [unrolled: 1-line block ×3, first 2 shown]
	v_fma_f64 v[18:19], v[84:85], s[24:25], -v[36:37]
	v_fma_f64 v[36:37], v[68:69], s[22:23], -v[188:189]
	v_add_f64 v[76:77], v[76:77], v[126:127]
	v_add_f64 v[72:73], v[72:73], v[150:151]
	v_add_f64 v[16:17], v[18:19], v[16:17]
	v_fma_f64 v[18:19], v[140:141], s[8:9], -v[40:41]
	v_mul_f64 v[40:41], v[182:183], s[54:55]
	v_add_f64 v[70:71], v[76:77], v[70:71]
	v_add_f64 v[48:49], v[72:73], v[48:49]
	v_fma_f64 v[76:77], v[160:161], s[6:7], -v[142:143]
	v_add_f64 v[16:17], v[18:19], v[16:17]
	v_fma_f64 v[18:19], v[108:109], s[28:29], v[44:45]
	v_fma_f64 v[44:45], v[178:179], s[22:23], v[192:193]
	v_add_f64 v[62:63], v[70:71], v[62:63]
	v_add_f64 v[48:49], v[48:49], v[64:65]
	;; [unrolled: 1-line block ×4, first 2 shown]
	v_mul_f64 v[18:19], v[212:213], s[2:3]
	v_fma_f64 v[32:33], v[116:117], s[24:25], v[46:47]
	v_mul_f64 v[46:47], v[172:173], s[26:27]
	v_add_f64 v[58:59], v[62:63], v[58:59]
	v_add_f64 v[48:49], v[48:49], v[56:57]
	v_fma_f64 v[62:63], v[200:201], s[22:23], -v[128:129]
	v_add_f64 v[16:17], v[36:37], v[16:17]
	v_add_f64 v[14:15], v[34:35], v[14:15]
	v_fma_f64 v[34:35], v[114:115], s[28:29], v[18:19]
	v_fma_f64 v[36:37], v[146:147], s[8:9], v[186:187]
	;; [unrolled: 1-line block ×3, first 2 shown]
	v_fma_f64 v[18:19], v[114:115], s[28:29], -v[18:19]
	v_add_f64 v[58:59], v[58:59], v[52:53]
	v_add_f64 v[48:49], v[48:49], v[54:55]
	;; [unrolled: 1-line block ×3, first 2 shown]
	v_fma_f64 v[32:33], v[110:111], s[24:25], v[38:39]
	v_add_f64 v[34:35], v[2:3], v[34:35]
	v_fma_f64 v[38:39], v[110:111], s[24:25], -v[38:39]
	v_add_f64 v[18:19], v[2:3], v[18:19]
	v_add_f64 v[54:55], v[48:49], v[50:51]
	;; [unrolled: 1-line block ×3, first 2 shown]
	v_mul_f64 v[36:37], v[166:167], s[30:31]
	v_add_f64 v[32:33], v[32:33], v[34:35]
	v_fma_f64 v[34:35], v[82:83], s[14:15], v[40:41]
	v_add_f64 v[18:19], v[38:39], v[18:19]
	v_fma_f64 v[38:39], v[82:83], s[14:15], -v[40:41]
	v_add_f64 v[14:15], v[42:43], v[14:15]
	v_fma_f64 v[42:43], v[84:85], s[36:37], v[36:37]
	v_fma_f64 v[36:37], v[84:85], s[36:37], -v[36:37]
	v_add_f64 v[32:33], v[34:35], v[32:33]
	v_fma_f64 v[34:35], v[200:201], s[36:37], -v[194:195]
	v_add_f64 v[18:19], v[38:39], v[18:19]
	v_fma_f64 v[38:39], v[140:141], s[22:23], -v[46:47]
	v_mul_f64 v[194:195], v[124:125], s[26:27]
	v_add_f64 v[14:15], v[44:45], v[14:15]
	v_mul_f64 v[44:45], v[176:177], s[56:57]
	v_add_f64 v[42:43], v[42:43], v[32:33]
	v_add_f64 v[34:35], v[34:35], v[16:17]
	;; [unrolled: 1-line block ×4, first 2 shown]
	v_mul_f64 v[12:13], v[210:211], s[40:41]
	v_fma_f64 v[14:15], v[160:161], s[8:9], v[44:45]
	v_add_f64 v[16:17], v[174:175], v[42:43]
	v_mul_f64 v[174:175], v[124:125], s[46:47]
	v_add_f64 v[18:19], v[38:39], v[18:19]
	v_fma_f64 v[44:45], v[160:161], s[8:9], -v[44:45]
	v_fma_f64 v[42:43], v[68:69], s[38:39], v[12:13]
	v_fma_f64 v[12:13], v[68:69], s[38:39], -v[12:13]
	v_add_f64 v[14:15], v[14:15], v[16:17]
	v_mul_f64 v[16:17], v[120:121], s[2:3]
	v_fma_f64 v[186:187], v[108:109], s[24:25], -v[174:175]
	v_fma_f64 v[36:37], v[108:109], s[24:25], v[174:175]
	v_add_f64 v[18:19], v[44:45], v[18:19]
	v_mul_f64 v[44:45], v[222:223], s[20:21]
	v_mul_f64 v[174:175], v[184:185], s[26:27]
	v_add_f64 v[14:15], v[42:43], v[14:15]
	v_fma_f64 v[42:43], v[106:107], s[28:29], -v[16:17]
	v_fma_f64 v[16:17], v[106:107], s[28:29], v[16:17]
	v_add_f64 v[12:13], v[12:13], v[18:19]
	v_mul_f64 v[18:19], v[212:213], s[18:19]
	v_add_f64 v[42:43], v[0:1], v[42:43]
	v_add_f64 v[16:17], v[0:1], v[16:17]
	;; [unrolled: 1-line block ×3, first 2 shown]
	v_mul_f64 v[186:187], v[130:131], s[54:55]
	v_add_f64 v[16:17], v[36:37], v[16:17]
	v_mul_f64 v[130:131], v[130:131], s[30:31]
	v_fma_f64 v[188:189], v[60:61], s[14:15], -v[186:187]
	v_fma_f64 v[36:37], v[60:61], s[14:15], v[186:187]
	v_mul_f64 v[186:187], v[172:173], s[30:31]
	v_fma_f64 v[78:79], v[60:61], s[36:37], -v[130:131]
	v_add_f64 v[42:43], v[188:189], v[42:43]
	v_mul_f64 v[188:189], v[138:139], s[30:31]
	v_add_f64 v[16:17], v[36:37], v[16:17]
	v_mul_f64 v[36:37], v[168:169], s[56:57]
	v_fma_f64 v[190:191], v[116:117], s[36:37], -v[188:189]
	v_fma_f64 v[40:41], v[116:117], s[36:37], v[188:189]
	v_fma_f64 v[38:39], v[162:163], s[8:9], -v[36:37]
	v_fma_f64 v[36:37], v[162:163], s[8:9], v[36:37]
	v_mul_f64 v[188:189], v[176:177], s[44:45]
	v_add_f64 v[42:43], v[190:191], v[42:43]
	v_mul_f64 v[190:191], v[152:153], s[26:27]
	v_add_f64 v[16:17], v[40:41], v[16:17]
	v_mul_f64 v[40:41], v[204:205], s[40:41]
	v_fma_f64 v[192:193], v[146:147], s[22:23], -v[190:191]
	v_fma_f64 v[46:47], v[146:147], s[22:23], v[190:191]
	v_mul_f64 v[190:191], v[210:211], s[58:59]
	v_add_f64 v[42:43], v[192:193], v[42:43]
	v_add_f64 v[16:17], v[46:47], v[16:17]
	v_mul_f64 v[46:47], v[214:215], s[20:21]
	v_mul_f64 v[192:193], v[120:121], s[18:19]
	;; [unrolled: 1-line block ×4, first 2 shown]
	v_add_f64 v[38:39], v[38:39], v[42:43]
	v_fma_f64 v[42:43], v[178:179], s[38:39], -v[40:41]
	v_fma_f64 v[40:41], v[178:179], s[38:39], v[40:41]
	v_add_f64 v[16:17], v[36:37], v[16:17]
	v_fma_f64 v[36:37], v[202:203], s[6:7], -v[46:47]
	v_fma_f64 v[86:87], v[108:109], s[14:15], -v[120:121]
	v_add_f64 v[42:43], v[42:43], v[38:39]
	v_fma_f64 v[38:39], v[200:201], s[6:7], v[44:45]
	v_add_f64 v[16:17], v[40:41], v[16:17]
	v_add_f64 v[36:37], v[36:37], v[42:43]
	;; [unrolled: 1-line block ×3, first 2 shown]
	v_fma_f64 v[14:15], v[200:201], s[6:7], -v[44:45]
	v_fma_f64 v[44:45], v[202:203], s[6:7], v[46:47]
	v_fma_f64 v[46:47], v[114:115], s[8:9], v[18:19]
	v_fma_f64 v[18:19], v[114:115], s[8:9], -v[18:19]
	v_add_f64 v[42:43], v[14:15], v[12:13]
	v_add_f64 v[40:41], v[44:45], v[16:17]
	v_mul_f64 v[12:13], v[182:183], s[48:49]
	v_fma_f64 v[14:15], v[110:111], s[22:23], v[174:175]
	v_add_f64 v[16:17], v[2:3], v[46:47]
	v_fma_f64 v[174:175], v[110:111], s[22:23], -v[174:175]
	v_add_f64 v[18:19], v[2:3], v[18:19]
	v_fma_f64 v[46:47], v[108:109], s[22:23], -v[194:195]
	v_fma_f64 v[44:45], v[82:83], s[28:29], v[12:13]
	v_fma_f64 v[12:13], v[82:83], s[28:29], -v[12:13]
	v_add_f64 v[14:15], v[14:15], v[16:17]
	v_mul_f64 v[16:17], v[166:167], s[52:53]
	v_add_f64 v[18:19], v[174:175], v[18:19]
	v_mul_f64 v[174:175], v[184:185], s[20:21]
	v_add_f64 v[14:15], v[44:45], v[14:15]
	v_fma_f64 v[44:45], v[84:85], s[38:39], v[16:17]
	v_add_f64 v[12:13], v[12:13], v[18:19]
	v_fma_f64 v[16:17], v[84:85], s[38:39], -v[16:17]
	v_fma_f64 v[18:19], v[108:109], s[22:23], v[194:195]
	v_add_f64 v[174:175], v[254:255], -v[174:175]
	v_mul_f64 v[194:195], v[106:107], s[14:15]
	v_add_f64 v[14:15], v[44:45], v[14:15]
	v_fma_f64 v[44:45], v[140:141], s[36:37], v[186:187]
	v_add_f64 v[12:13], v[16:17], v[12:13]
	v_fma_f64 v[16:17], v[140:141], s[36:37], -v[186:187]
	v_mul_f64 v[186:187], v[108:109], s[6:7]
	v_add_f64 v[14:15], v[44:45], v[14:15]
	v_fma_f64 v[44:45], v[160:161], s[24:25], v[188:189]
	v_add_f64 v[12:13], v[16:17], v[12:13]
	v_fma_f64 v[16:17], v[160:161], s[24:25], -v[188:189]
	v_add_f64 v[186:187], v[186:187], v[228:229]
	v_mul_f64 v[188:189], v[60:61], s[22:23]
	v_add_f64 v[14:15], v[44:45], v[14:15]
	v_fma_f64 v[44:45], v[68:69], s[6:7], v[190:191]
	v_add_f64 v[12:13], v[16:17], v[12:13]
	v_fma_f64 v[16:17], v[68:69], s[6:7], -v[190:191]
	v_mul_f64 v[190:191], v[166:167], s[48:49]
	v_add_f64 v[188:189], v[188:189], v[240:241]
	v_fma_f64 v[68:69], v[68:69], s[24:25], -v[134:135]
	v_add_f64 v[14:15], v[44:45], v[14:15]
	v_fma_f64 v[44:45], v[106:107], s[8:9], -v[192:193]
	v_add_f64 v[12:13], v[16:17], v[12:13]
	v_fma_f64 v[16:17], v[106:107], s[8:9], v[192:193]
	v_add_f64 v[190:191], v[248:249], -v[190:191]
	v_mul_f64 v[192:193], v[172:173], s[54:55]
	v_add_f64 v[44:45], v[0:1], v[44:45]
	v_add_f64 v[16:17], v[0:1], v[16:17]
	v_add_f64 v[192:193], v[250:251], -v[192:193]
	v_add_f64 v[44:45], v[46:47], v[44:45]
	v_fma_f64 v[46:47], v[60:61], s[28:29], -v[196:197]
	v_add_f64 v[16:17], v[18:19], v[16:17]
	v_fma_f64 v[18:19], v[60:61], s[28:29], v[196:197]
	v_mul_f64 v[196:197], v[212:213], s[16:17]
	v_add_f64 v[44:45], v[46:47], v[44:45]
	v_fma_f64 v[46:47], v[116:117], s[38:39], -v[198:199]
	v_add_f64 v[16:17], v[18:19], v[16:17]
	v_fma_f64 v[18:19], v[116:117], s[38:39], v[198:199]
	v_mul_f64 v[198:199], v[108:109], s[8:9]
	v_fma_f64 v[108:109], v[108:109], s[14:15], v[120:121]
	v_add_f64 v[44:45], v[46:47], v[44:45]
	v_fma_f64 v[46:47], v[146:147], s[36:37], -v[206:207]
	v_add_f64 v[16:17], v[18:19], v[16:17]
	v_fma_f64 v[18:19], v[146:147], s[36:37], v[206:207]
	v_mul_f64 v[206:207], v[184:185], s[18:19]
	v_mul_f64 v[184:185], v[184:185], s[16:17]
	v_add_f64 v[74:75], v[108:109], v[74:75]
	v_add_f64 v[44:45], v[46:47], v[44:45]
	v_fma_f64 v[46:47], v[162:163], s[24:25], -v[208:209]
	v_add_f64 v[16:17], v[18:19], v[16:17]
	v_fma_f64 v[18:19], v[162:163], s[24:25], v[208:209]
	v_mul_f64 v[208:209], v[60:61], s[6:7]
	v_fma_f64 v[60:61], v[60:61], s[36:37], v[130:131]
	v_add_f64 v[44:45], v[46:47], v[44:45]
	v_fma_f64 v[46:47], v[178:179], s[6:7], -v[216:217]
	v_add_f64 v[16:17], v[18:19], v[16:17]
	v_fma_f64 v[18:19], v[178:179], s[6:7], v[216:217]
	v_mul_f64 v[216:217], v[182:183], s[20:21]
	v_add_f64 v[60:61], v[60:61], v[74:75]
	v_fma_f64 v[74:75], v[146:147], s[28:29], -v[112:113]
	v_add_f64 v[44:45], v[46:47], v[44:45]
	v_fma_f64 v[46:47], v[200:201], s[14:15], v[218:219]
	v_add_f64 v[16:17], v[18:19], v[16:17]
	v_mul_f64 v[18:19], v[182:183], s[42:43]
	v_fma_f64 v[218:219], v[200:201], s[14:15], -v[218:219]
	v_mul_f64 v[182:183], v[182:183], s[30:31]
	v_add_f64 v[46:47], v[46:47], v[14:15]
	v_mul_f64 v[14:15], v[214:215], s[54:55]
	v_add_f64 v[18:19], v[164:165], -v[18:19]
	v_mul_f64 v[164:165], v[212:213], s[30:31]
	v_add_f64 v[228:229], v[218:219], v[12:13]
	v_mul_f64 v[12:13], v[210:211], s[50:51]
	v_fma_f64 v[220:221], v[202:203], s[14:15], -v[14:15]
	v_fma_f64 v[14:15], v[202:203], s[14:15], v[14:15]
	v_add_f64 v[164:165], v[246:247], -v[164:165]
	v_add_f64 v[12:13], v[224:225], -v[12:13]
	v_add_f64 v[44:45], v[220:221], v[44:45]
	v_mul_f64 v[220:221], v[202:203], s[24:25]
	v_add_f64 v[164:165], v[2:3], v[164:165]
	v_add_f64 v[220:221], v[220:221], v[232:233]
	;; [unrolled: 1-line block ×3, first 2 shown]
	v_mul_f64 v[174:175], v[106:107], s[36:37]
	v_fma_f64 v[106:107], v[110:111], s[14:15], -v[184:185]
	v_add_f64 v[18:19], v[18:19], v[164:165]
	v_add_f64 v[174:175], v[174:175], v[226:227]
	v_mul_f64 v[164:165], v[146:147], s[14:15]
	v_add_f64 v[226:227], v[14:15], v[16:17]
	v_mul_f64 v[16:17], v[202:203], s[38:39]
	v_mul_f64 v[14:15], v[178:179], s[36:37]
	v_add_f64 v[18:19], v[190:191], v[18:19]
	v_add_f64 v[174:175], v[0:1], v[174:175]
	;; [unrolled: 1-line block ×3, first 2 shown]
	v_mul_f64 v[190:191], v[162:163], s[38:39]
	v_add_f64 v[18:19], v[192:193], v[18:19]
	v_add_f64 v[174:175], v[186:187], v[174:175]
	v_mul_f64 v[186:187], v[116:117], s[28:29]
	v_mul_f64 v[192:193], v[178:179], s[8:9]
	v_add_f64 v[190:191], v[190:191], v[234:235]
	v_mul_f64 v[234:235], v[146:147], s[24:25]
	v_add_f64 v[174:175], v[188:189], v[174:175]
	v_add_f64 v[186:187], v[186:187], v[236:237]
	v_mul_f64 v[188:189], v[176:177], s[40:41]
	v_add_f64 v[192:193], v[192:193], v[230:231]
	v_mul_f64 v[236:237], v[176:177], s[48:49]
	;; [unrolled: 2-line block ×3, first 2 shown]
	v_add_f64 v[188:189], v[242:243], -v[188:189]
	v_add_f64 v[164:165], v[164:165], v[174:175]
	v_mul_f64 v[174:175], v[222:223], s[44:45]
	v_add_f64 v[186:187], v[244:245], -v[186:187]
	v_add_f64 v[18:19], v[188:189], v[18:19]
	v_mul_f64 v[188:189], v[116:117], s[22:23]
	v_add_f64 v[164:165], v[190:191], v[164:165]
	v_add_f64 v[174:175], v[252:253], -v[174:175]
	v_mul_f64 v[190:191], v[166:167], s[26:27]
	v_add_f64 v[18:19], v[186:187], v[18:19]
	v_mul_f64 v[186:187], v[172:173], s[46:47]
	v_mul_f64 v[166:167], v[166:167], s[18:19]
	v_add_f64 v[164:165], v[192:193], v[164:165]
	v_mul_f64 v[192:193], v[162:163], s[28:29]
	v_add_f64 v[232:233], v[174:175], v[18:19]
	buffer_load_dword v174, off, s[60:63], 0 offset:144 ; 4-byte Folded Reload
	buffer_load_dword v175, off, s[60:63], 0 offset:148 ; 4-byte Folded Reload
	v_fma_f64 v[156:157], v[84:85], s[8:9], v[166:167]
	v_mul_f64 v[18:19], v[222:223], s[52:53]
	v_fma_f64 v[84:85], v[84:85], s[8:9], -v[166:167]
	v_add_f64 v[230:231], v[220:221], v[164:165]
	v_mul_f64 v[164:165], v[212:213], s[40:41]
	s_waitcnt vmcnt(0)
	v_add_f64 v[174:175], v[174:175], -v[196:197]
	buffer_load_dword v196, off, s[60:63], 0 offset:112 ; 4-byte Folded Reload
	buffer_load_dword v197, off, s[60:63], 0 offset:116 ; 4-byte Folded Reload
	v_add_f64 v[174:175], v[2:3], v[174:175]
	s_waitcnt vmcnt(0)
	v_add_f64 v[194:195], v[194:195], v[196:197]
	buffer_load_dword v196, off, s[60:63], 0 offset:136 ; 4-byte Folded Reload
	buffer_load_dword v197, off, s[60:63], 0 offset:140 ; 4-byte Folded Reload
	;; [unrolled: 1-line block ×4, first 2 shown]
	v_add_f64 v[194:195], v[0:1], v[194:195]
	v_add_f64 v[0:1], v[0:1], v[80:81]
	v_fma_f64 v[80:81], v[82:83], s[36:37], -v[182:183]
	v_add_f64 v[0:1], v[86:87], v[0:1]
	v_add_f64 v[0:1], v[78:79], v[0:1]
	v_fma_f64 v[78:79], v[140:141], s[28:29], -v[148:149]
	s_waitcnt vmcnt(2)
	v_add_f64 v[196:197], v[196:197], -v[236:237]
	s_waitcnt vmcnt(0)
	v_add_f64 v[186:187], v[212:213], -v[186:187]
	buffer_load_dword v212, off, s[60:63], 0 offset:104 ; 4-byte Folded Reload
	buffer_load_dword v213, off, s[60:63], 0 offset:108 ; 4-byte Folded Reload
	;; [unrolled: 1-line block ×4, first 2 shown]
	s_waitcnt vmcnt(2)
	v_add_f64 v[206:207], v[212:213], -v[206:207]
	s_waitcnt vmcnt(0)
	v_add_f64 v[198:199], v[198:199], v[218:219]
	buffer_load_dword v218, off, s[60:63], 0 offset:120 ; 4-byte Folded Reload
	buffer_load_dword v219, off, s[60:63], 0 offset:124 ; 4-byte Folded Reload
	v_fma_f64 v[212:213], v[114:115], s[38:39], v[164:165]
	v_fma_f64 v[114:115], v[114:115], s[38:39], -v[164:165]
	v_add_f64 v[174:175], v[206:207], v[174:175]
	v_add_f64 v[194:195], v[198:199], v[194:195]
	v_fma_f64 v[198:199], v[82:83], s[36:37], v[182:183]
	v_add_f64 v[212:213], v[2:3], v[212:213]
	v_add_f64 v[2:3], v[2:3], v[114:115]
	v_fma_f64 v[82:83], v[116:117], s[8:9], -v[124:125]
	v_add_f64 v[2:3], v[106:107], v[2:3]
	v_add_f64 v[0:1], v[82:83], v[0:1]
	;; [unrolled: 1-line block ×3, first 2 shown]
	v_fma_f64 v[80:81], v[116:117], s[8:9], v[124:125]
	v_add_f64 v[0:1], v[74:75], v[0:1]
	v_add_f64 v[2:3], v[84:85], v[2:3]
	v_fma_f64 v[84:85], v[146:147], s[28:29], v[112:113]
	v_add_f64 v[60:61], v[80:81], v[60:61]
	v_add_f64 v[2:3], v[78:79], v[2:3]
	;; [unrolled: 1-line block ×6, first 2 shown]
	s_waitcnt vmcnt(0)
	v_add_f64 v[190:191], v[218:219], -v[190:191]
	buffer_load_dword v218, off, s[60:63], 0 offset:88 ; 4-byte Folded Reload
	buffer_load_dword v219, off, s[60:63], 0 offset:92 ; 4-byte Folded Reload
	;; [unrolled: 1-line block ×4, first 2 shown]
	s_waitcnt vmcnt(2)
	v_add_f64 v[216:217], v[218:219], -v[216:217]
	v_fma_f64 v[218:219], v[110:111], s[14:15], v[184:185]
	s_waitcnt vmcnt(0)
	v_add_f64 v[206:207], v[208:209], v[206:207]
	v_add_f64 v[174:175], v[216:217], v[174:175]
	;; [unrolled: 1-line block ×3, first 2 shown]
	buffer_load_dword v212, off, s[60:63], 0 offset:48 ; 4-byte Folded Reload
	buffer_load_dword v213, off, s[60:63], 0 offset:52 ; 4-byte Folded Reload
	v_add_f64 v[194:195], v[206:207], v[194:195]
	v_add_f64 v[173:174], v[190:191], v[174:175]
	;; [unrolled: 1-line block ×3, first 2 shown]
	buffer_load_dword v190, off, s[60:63], 0 offset:56 ; 4-byte Folded Reload
	buffer_load_dword v191, off, s[60:63], 0 offset:60 ; 4-byte Folded Reload
	v_add_f64 v[156:157], v[156:157], v[171:172]
	v_add_f64 v[171:172], v[186:187], v[173:174]
	buffer_load_dword v173, off, s[60:63], 0 offset:8 ; 4-byte Folded Reload
	buffer_load_dword v174, off, s[60:63], 0 offset:12 ; 4-byte Folded Reload
	v_add_f64 v[144:145], v[144:145], v[156:157]
	v_add_f64 v[156:157], v[196:197], v[171:172]
	buffer_load_dword v171, off, s[60:63], 0 ; 4-byte Folded Reload
	buffer_load_dword v172, off, s[60:63], 0 offset:4 ; 4-byte Folded Reload
	v_add_f64 v[136:137], v[136:137], v[144:145]
	buffer_load_dword v144, off, s[60:63], 0 offset:24 ; 4-byte Folded Reload
	buffer_load_dword v145, off, s[60:63], 0 offset:28 ; 4-byte Folded Reload
	v_add_f64 v[12:13], v[12:13], v[156:157]
	v_add_f64 v[122:123], v[132:133], v[136:137]
	v_mul_f64 v[136:137], v[204:205], s[44:45]
	v_mul_f64 v[132:133], v[214:215], s[26:27]
	v_fma_f64 v[70:71], v[178:179], s[24:25], v[136:137]
	v_fma_f64 v[64:65], v[178:179], s[24:25], -v[136:137]
	s_waitcnt vmcnt(8)
	v_add_f64 v[188:189], v[188:189], v[212:213]
	s_waitcnt vmcnt(6)
	v_add_f64 v[190:191], v[234:235], v[190:191]
	v_add_f64 v[188:189], v[188:189], v[194:195]
	s_waitcnt vmcnt(4)
	v_add_f64 v[173:174], v[192:193], v[173:174]
	;; [unrolled: 3-line block ×3, first 2 shown]
	v_add_f64 v[171:172], v[173:174], v[175:176]
	s_waitcnt vmcnt(0)
	v_add_f64 v[18:19], v[144:145], -v[18:19]
	buffer_load_dword v144, off, s[60:63], 0 offset:16 ; 4-byte Folded Reload
	buffer_load_dword v145, off, s[60:63], 0 offset:20 ; 4-byte Folded Reload
	v_add_f64 v[14:15], v[14:15], v[171:172]
	v_add_f64 v[2:3], v[18:19], v[12:13]
	s_waitcnt vmcnt(0)
	v_add_f64 v[16:17], v[16:17], v[144:145]
	v_mul_f64 v[144:145], v[168:169], s[20:21]
	v_fma_f64 v[78:79], v[162:163], s[6:7], v[144:145]
	v_fma_f64 v[72:73], v[162:163], s[6:7], -v[144:145]
	v_add_f64 v[56:57], v[78:79], v[60:61]
	v_add_f64 v[0:1], v[72:73], v[0:1]
	v_fma_f64 v[72:73], v[202:203], s[22:23], v[132:133]
	v_fma_f64 v[60:61], v[202:203], s[22:23], -v[132:133]
	v_add_f64 v[70:71], v[70:71], v[56:57]
	v_add_f64 v[56:57], v[58:59], v[66:67]
	;; [unrolled: 1-line block ×4, first 2 shown]
	v_lshrrev_b32_e32 v16, 1, v90
	v_mul_u32_u24_e32 v16, 34, v16
	v_or_b32_e32 v16, v16, v102
	v_lshlrev_b32_e32 v16, 4, v16
	v_add_f64 v[50:51], v[72:73], v[70:71]
	v_add3_u32 v16, 0, v16, v100
	ds_write_b128 v16, v[54:57]
	ds_write_b128 v16, v[50:53] offset:32
	ds_write_b128 v16, v[0:3] offset:64
	;; [unrolled: 1-line block ×7, first 2 shown]
	buffer_load_dword v0, off, s[60:63], 0 offset:64 ; 4-byte Folded Reload
	buffer_load_dword v1, off, s[60:63], 0 offset:68 ; 4-byte Folded Reload
	;; [unrolled: 1-line block ×4, first 2 shown]
	v_add_f64 v[14:15], v[118:119], v[122:123]
	v_add_f64 v[12:13], v[60:61], v[64:65]
	s_waitcnt vmcnt(0)
	ds_write_b128 v16, v[0:3] offset:256
	buffer_load_dword v0, off, s[60:63], 0 offset:32 ; 4-byte Folded Reload
	buffer_load_dword v1, off, s[60:63], 0 offset:36 ; 4-byte Folded Reload
	buffer_load_dword v2, off, s[60:63], 0 offset:40 ; 4-byte Folded Reload
	buffer_load_dword v3, off, s[60:63], 0 offset:44 ; 4-byte Folded Reload
	s_waitcnt vmcnt(0)
	ds_write_b128 v16, v[0:3] offset:288
	ds_write_b128 v16, v[20:23] offset:320
	;; [unrolled: 1-line block ×8, first 2 shown]
.LBB0_18:
	s_or_b64 exec, exec, s[34:35]
	v_lshlrev_b32_e32 v0, 4, v94
	v_lshlrev_b32_e32 v20, 4, v103
	;; [unrolled: 1-line block ×3, first 2 shown]
	v_add3_u32 v69, 0, v0, v100
	v_lshlrev_b32_e32 v0, 4, v105
	v_add3_u32 v70, 0, v20, v100
	v_lshlrev_b32_e32 v20, 4, v101
	;; [unrolled: 2-line block ×3, first 2 shown]
	s_waitcnt lgkmcnt(0)
	s_barrier
	ds_read_b128 v[16:19], v98
	ds_read_b128 v[36:39], v95 offset:8160
	v_add3_u32 v68, 0, v0, v100
	ds_read_b128 v[12:15], v69
	ds_read_b128 v[0:3], v68
	ds_read_b128 v[44:47], v95 offset:9248
	ds_read_b128 v[40:43], v95 offset:10336
	v_add3_u32 v72, 0, v20, v100
	ds_read_b128 v[24:27], v70
	ds_read_b128 v[20:23], v72
	ds_read_b128 v[52:55], v95 offset:11424
	;; [unrolled: 5-line block ×3, first 2 shown]
	ds_read_b128 v[56:59], v95 offset:14688
	v_lshlrev_b32_e32 v75, 4, v96
	s_and_saveexec_b64 s[2:3], vcc
	s_cbranch_execz .LBB0_20
; %bb.19:
	v_add3_u32 v4, 0, v75, v100
	ds_read_b128 v[4:7], v4
	ds_read_b128 v[8:11], v95 offset:15776
.LBB0_20:
	s_or_b64 exec, exec, s[2:3]
	v_subrev_u32_e32 v64, 34, v90
	v_cndmask_b32_e32 v64, v64, v90, vcc
	v_mov_b32_e32 v65, 0
	v_lshlrev_b64 v[66:67], 4, v[64:65]
	v_mov_b32_e32 v74, s13
	v_add_co_u32_e64 v66, s[2:3], s12, v66
	v_addc_co_u32_e64 v67, s[2:3], v74, v67, s[2:3]
	s_movk_i32 s2, 0xf1
	v_mul_lo_u16_sdwa v74, v94, s2 dst_sel:DWORD dst_unused:UNUSED_PAD src0_sel:BYTE_0 src1_sel:DWORD
	v_lshrrev_b16_e32 v102, 13, v74
	v_mul_lo_u16_e32 v74, 34, v102
	v_sub_u16_e32 v76, v94, v74
	v_mov_b32_e32 v74, 4
	v_lshlrev_b32_sdwa v104, v74, v76 dst_sel:DWORD dst_unused:UNUSED_PAD src0_sel:DWORD src1_sel:BYTE_0
	global_load_dwordx4 v[78:81], v[66:67], off offset:512
	global_load_dwordx4 v[82:85], v104, s[12:13] offset:512
	v_mul_lo_u16_sdwa v66, v105, s2 dst_sel:DWORD dst_unused:UNUSED_PAD src0_sel:BYTE_0 src1_sel:DWORD
	v_lshrrev_b16_e32 v67, 13, v66
	s_mov_b32 s6, 0xf0f1
	v_mul_lo_u16_e32 v66, 34, v67
	v_mul_u32_u24_sdwa v77, v103, s6 dst_sel:DWORD dst_unused:UNUSED_PAD src0_sel:WORD_0 src1_sel:DWORD
	v_sub_u16_e32 v66, v105, v66
	v_lshrrev_b32_e32 v139, 21, v77
	v_lshlrev_b32_sdwa v138, v74, v66 dst_sel:DWORD dst_unused:UNUSED_PAD src0_sel:DWORD src1_sel:BYTE_0
	v_mul_lo_u16_e32 v66, 34, v139
	v_mul_u32_u24_sdwa v76, v101, s6 dst_sel:DWORD dst_unused:UNUSED_PAD src0_sel:WORD_0 src1_sel:DWORD
	v_sub_u16_e32 v66, v103, v66
	v_lshrrev_b32_e32 v141, 21, v76
	v_lshlrev_b32_e32 v140, 4, v66
	v_mul_lo_u16_e32 v66, 34, v141
	v_sub_u16_e32 v66, v101, v66
	v_lshlrev_b32_e32 v142, 4, v66
	v_mul_u32_u24_sdwa v66, v99, s6 dst_sel:DWORD dst_unused:UNUSED_PAD src0_sel:WORD_0 src1_sel:DWORD
	v_lshrrev_b32_e32 v143, 21, v66
	global_load_dwordx4 v[106:109], v138, s[12:13] offset:512
	global_load_dwordx4 v[110:113], v140, s[12:13] offset:512
	v_mul_lo_u16_e32 v66, 34, v143
	v_sub_u16_e32 v66, v99, v66
	v_lshlrev_b32_e32 v144, 4, v66
	v_mul_u32_u24_sdwa v66, v97, s6 dst_sel:DWORD dst_unused:UNUSED_PAD src0_sel:WORD_0 src1_sel:DWORD
	v_lshrrev_b32_e32 v145, 21, v66
	global_load_dwordx4 v[114:117], v142, s[12:13] offset:512
	global_load_dwordx4 v[118:121], v144, s[12:13] offset:512
	v_mul_lo_u16_e32 v66, 34, v145
	v_sub_u16_e32 v66, v97, v66
	v_lshlrev_b32_e32 v146, 4, v66
	global_load_dwordx4 v[122:125], v146, s[12:13] offset:512
	v_mov_b32_e32 v86, 0x440
	v_cmp_lt_u32_e64 s[2:3], 33, v90
	v_cndmask_b32_e64 v86, 0, v86, s[2:3]
	v_add_u32_e32 v86, 0, v86
	v_lshlrev_b32_e32 v64, 4, v64
	v_add3_u32 v64, v86, v64, v100
	s_movk_i32 s7, 0x440
	s_waitcnt vmcnt(0) lgkmcnt(0)
	s_barrier
	v_lshlrev_b32_e32 v66, 1, v90
	v_mul_f64 v[86:87], v[38:39], v[80:81]
	v_mul_f64 v[80:81], v[36:37], v[80:81]
	v_mul_f64 v[126:127], v[46:47], v[84:85]
	v_mul_f64 v[84:85], v[44:45], v[84:85]
	v_fma_f64 v[36:37], v[36:37], v[78:79], v[86:87]
	v_fma_f64 v[38:39], v[38:39], v[78:79], -v[80:81]
	v_fma_f64 v[44:45], v[44:45], v[82:83], v[126:127]
	v_fma_f64 v[46:47], v[46:47], v[82:83], -v[84:85]
	v_add_f64 v[36:37], v[16:17], -v[36:37]
	v_add_f64 v[38:39], v[18:19], -v[38:39]
	v_mul_f64 v[128:129], v[42:43], v[108:109]
	v_mul_f64 v[108:109], v[40:41], v[108:109]
	;; [unrolled: 1-line block ×4, first 2 shown]
	v_fma_f64 v[16:17], v[16:17], 2.0, -v[36:37]
	v_mul_f64 v[132:133], v[50:51], v[116:117]
	v_mul_f64 v[116:117], v[48:49], v[116:117]
	;; [unrolled: 1-line block ×4, first 2 shown]
	v_fma_f64 v[78:79], v[40:41], v[106:107], v[128:129]
	v_mul_f64 v[136:137], v[58:59], v[124:125]
	v_mul_f64 v[124:125], v[56:57], v[124:125]
	v_fma_f64 v[80:81], v[42:43], v[106:107], -v[108:109]
	v_fma_f64 v[52:53], v[52:53], v[110:111], v[130:131]
	v_fma_f64 v[54:55], v[54:55], v[110:111], -v[112:113]
	v_fma_f64 v[82:83], v[48:49], v[114:115], v[132:133]
	;; [unrolled: 2-line block ×3, first 2 shown]
	v_fma_f64 v[62:63], v[62:63], v[118:119], -v[120:121]
	v_add_f64 v[40:41], v[12:13], -v[44:45]
	v_add_f64 v[42:43], v[14:15], -v[46:47]
	v_fma_f64 v[86:87], v[56:57], v[122:123], v[136:137]
	v_fma_f64 v[106:107], v[58:59], v[122:123], -v[124:125]
	v_add_f64 v[44:45], v[0:1], -v[78:79]
	v_add_f64 v[46:47], v[2:3], -v[80:81]
	;; [unrolled: 1-line block ×6, first 2 shown]
	v_fma_f64 v[18:19], v[18:19], 2.0, -v[38:39]
	v_add_f64 v[56:57], v[32:33], -v[60:61]
	v_add_f64 v[58:59], v[34:35], -v[62:63]
	v_fma_f64 v[12:13], v[12:13], 2.0, -v[40:41]
	v_fma_f64 v[14:15], v[14:15], 2.0, -v[42:43]
	v_add_f64 v[60:61], v[28:29], -v[86:87]
	v_add_f64 v[62:63], v[30:31], -v[106:107]
	v_fma_f64 v[0:1], v[0:1], 2.0, -v[44:45]
	v_fma_f64 v[2:3], v[2:3], 2.0, -v[46:47]
	;; [unrolled: 1-line block ×6, first 2 shown]
	ds_write_b128 v64, v[16:19]
	v_mad_u32_u24 v16, v102, s7, 0
	v_add3_u32 v16, v16, v104, v100
	ds_write_b128 v64, v[36:39] offset:544
	v_fma_f64 v[32:33], v[32:33], 2.0, -v[56:57]
	v_fma_f64 v[34:35], v[34:35], 2.0, -v[58:59]
	ds_write_b128 v16, v[12:15]
	ds_write_b128 v16, v[40:43] offset:544
	v_mad_u32_u24 v12, v67, s7, 0
	v_add3_u32 v12, v12, v138, v100
	v_fma_f64 v[28:29], v[28:29], 2.0, -v[60:61]
	v_fma_f64 v[30:31], v[30:31], 2.0, -v[62:63]
	ds_write_b128 v12, v[0:3]
	ds_write_b128 v12, v[44:47] offset:544
	v_mad_u32_u24 v0, v139, s7, 0
	v_add3_u32 v0, v0, v140, v100
	ds_write_b128 v0, v[24:27]
	ds_write_b128 v0, v[48:51] offset:544
	v_mad_u32_u24 v0, v141, s7, 0
	v_add3_u32 v0, v0, v142, v100
	ds_write_b128 v0, v[20:23]
	ds_write_b128 v0, v[52:55] offset:544
	v_mad_u32_u24 v0, v143, s7, 0
	v_add3_u32 v0, v0, v144, v100
	ds_write_b128 v0, v[32:35]
	ds_write_b128 v0, v[56:59] offset:544
	v_mad_u32_u24 v0, v145, s7, 0
	v_add3_u32 v0, v0, v146, v100
	ds_write_b128 v0, v[28:31]
	ds_write_b128 v0, v[60:63] offset:544
	s_and_saveexec_b64 s[2:3], vcc
	s_cbranch_execz .LBB0_22
; %bb.21:
	v_mul_u32_u24_sdwa v0, v96, s6 dst_sel:DWORD dst_unused:UNUSED_PAD src0_sel:WORD_0 src1_sel:DWORD
	v_lshrrev_b32_e32 v0, 21, v0
	v_mul_lo_u16_e32 v0, 34, v0
	v_sub_u16_e32 v0, v96, v0
	v_lshlrev_b32_e32 v14, 4, v0
	global_load_dwordx4 v[0:3], v14, s[12:13] offset:512
	s_waitcnt vmcnt(0)
	v_mul_f64 v[12:13], v[8:9], v[2:3]
	v_mul_f64 v[2:3], v[10:11], v[2:3]
	v_fma_f64 v[10:11], v[10:11], v[0:1], -v[12:13]
	v_fma_f64 v[0:1], v[8:9], v[0:1], v[2:3]
	v_add3_u32 v8, 0, v14, v100
	v_add_f64 v[2:3], v[6:7], -v[10:11]
	v_add_f64 v[0:1], v[4:5], -v[0:1]
	v_fma_f64 v[6:7], v[6:7], 2.0, -v[2:3]
	v_fma_f64 v[4:5], v[4:5], 2.0, -v[0:1]
	ds_write_b128 v8, v[4:7] offset:15232
	ds_write_b128 v8, v[0:3] offset:15776
.LBB0_22:
	s_or_b64 exec, exec, s[2:3]
	v_mov_b32_e32 v67, v65
	v_lshlrev_b64 v[1:2], 4, v[66:67]
	v_mov_b32_e32 v0, s13
	v_add_co_u32_e64 v10, s[2:3], s12, v1
	v_addc_co_u32_e64 v11, s[2:3], v0, v2, s[2:3]
	s_waitcnt lgkmcnt(0)
	s_barrier
	global_load_dwordx4 v[2:5], v[10:11], off offset:1072
	global_load_dwordx4 v[6:9], v[10:11], off offset:1056
	v_lshrrev_b32_e32 v10, 22, v77
	v_mul_lo_u16_e32 v10, 0x44, v10
	s_movk_i32 s2, 0x79
	v_sub_u16_e32 v64, v103, v10
	v_mul_lo_u16_sdwa v1, v105, s2 dst_sel:DWORD dst_unused:UNUSED_PAD src0_sel:BYTE_0 src1_sel:DWORD
	v_lshlrev_b32_e32 v18, 5, v64
	v_lshrrev_b16_e32 v1, 13, v1
	global_load_dwordx4 v[10:13], v18, s[12:13] offset:1072
	global_load_dwordx4 v[14:17], v18, s[12:13] offset:1056
	v_lshrrev_b32_e32 v18, 22, v76
	v_mul_lo_u16_e32 v1, 0x44, v1
	v_mul_lo_u16_e32 v18, 0x44, v18
	v_sub_u16_e32 v87, v101, v18
	v_sub_u16_e32 v102, v105, v1
	v_mov_b32_e32 v1, 5
	v_lshlrev_b32_e32 v26, 5, v87
	v_lshlrev_b32_sdwa v1, v1, v102 dst_sel:DWORD dst_unused:UNUSED_PAD src0_sel:DWORD src1_sel:BYTE_0
	global_load_dwordx4 v[18:21], v26, s[12:13] offset:1072
	global_load_dwordx4 v[22:25], v26, s[12:13] offset:1056
	s_nop 0
	global_load_dwordx4 v[26:29], v1, s[12:13] offset:1056
	global_load_dwordx4 v[30:33], v1, s[12:13] offset:1072
	ds_read_b128 v[34:37], v71
	ds_read_b128 v[38:41], v73
	;; [unrolled: 1-line block ×4, first 2 shown]
	v_add3_u32 v1, 0, v75, v100
	ds_read_b128 v[50:53], v95 offset:11968
	ds_read_b128 v[54:57], v95 offset:13056
	ds_read_b128 v[58:61], v98
	ds_read_b128 v[75:78], v95 offset:8704
	ds_read_b128 v[79:82], v70
	ds_read_b128 v[83:86], v72
	ds_read_b128 v[106:109], v95 offset:10880
	ds_read_b128 v[110:113], v95 offset:9792
	;; [unrolled: 1-line block ×4, first 2 shown]
	ds_read_b128 v[122:125], v1
	s_mov_b32 s2, 0xe8584caa
	s_mov_b32 s3, 0xbfebb67a
	;; [unrolled: 1-line block ×4, first 2 shown]
	s_waitcnt vmcnt(0) lgkmcnt(0)
	s_barrier
	s_mov_b32 s9, 0x3fee6f0e
	s_mov_b32 s15, 0x3fe2cf23
	;; [unrolled: 1-line block ×4, first 2 shown]
	v_mul_f64 v[126:127], v[108:109], v[4:5]
	v_mul_f64 v[62:63], v[36:37], v[8:9]
	;; [unrolled: 1-line block ×9, first 2 shown]
	v_fma_f64 v[34:35], v[34:35], v[6:7], v[62:63]
	v_fma_f64 v[62:63], v[106:107], v[2:3], v[126:127]
	v_mul_f64 v[134:135], v[77:78], v[16:17]
	v_mul_f64 v[16:17], v[75:76], v[16:17]
	v_fma_f64 v[36:37], v[36:37], v[6:7], -v[66:67]
	v_fma_f64 v[66:67], v[108:109], v[2:3], -v[128:129]
	v_fma_f64 v[38:39], v[38:39], v[6:7], v[130:131]
	v_fma_f64 v[6:7], v[40:41], v[6:7], -v[8:9]
	v_mul_f64 v[140:141], v[120:121], v[20:21]
	v_mul_f64 v[138:139], v[112:113], v[24:25]
	;; [unrolled: 1-line block ×8, first 2 shown]
	v_fma_f64 v[40:41], v[52:53], v[2:3], -v[4:5]
	v_mul_f64 v[12:13], v[114:115], v[12:13]
	v_add_f64 v[4:5], v[34:35], v[62:63]
	v_fma_f64 v[8:9], v[50:51], v[2:3], v[132:133]
	v_fma_f64 v[50:51], v[75:76], v[14:15], v[134:135]
	v_fma_f64 v[52:53], v[77:78], v[14:15], -v[16:17]
	v_fma_f64 v[75:76], v[114:115], v[10:11], v[136:137]
	v_fma_f64 v[106:107], v[110:111], v[22:23], v[138:139]
	v_fma_f64 v[108:109], v[112:113], v[22:23], -v[24:25]
	v_fma_f64 v[110:111], v[118:119], v[18:19], v[140:141]
	v_fma_f64 v[112:113], v[120:121], v[18:19], -v[20:21]
	;; [unrolled: 2-line block ×4, first 2 shown]
	v_add_f64 v[14:15], v[36:37], v[66:67]
	v_add_f64 v[18:19], v[42:43], v[38:39]
	;; [unrolled: 1-line block ×4, first 2 shown]
	v_fma_f64 v[77:78], v[116:117], v[10:11], -v[12:13]
	v_add_f64 v[12:13], v[36:37], -v[66:67]
	v_add_f64 v[10:11], v[60:61], v[36:37]
	v_fma_f64 v[36:37], v[4:5], -0.5, v[58:59]
	v_add_f64 v[2:3], v[58:59], v[34:35]
	v_add_f64 v[16:17], v[34:35], -v[62:63]
	v_add_f64 v[20:21], v[38:39], v[8:9]
	v_add_f64 v[22:23], v[6:7], -v[40:41]
	v_add_f64 v[34:35], v[38:39], -v[8:9]
	v_add_f64 v[38:39], v[114:115], v[28:29]
	v_fma_f64 v[54:55], v[14:15], -0.5, v[60:61]
	v_add_f64 v[6:7], v[18:19], v[8:9]
	v_fma_f64 v[30:31], v[30:31], -0.5, v[44:45]
	v_add_f64 v[8:9], v[24:25], v[40:41]
	v_add_f64 v[40:41], v[46:47], v[114:115]
	;; [unrolled: 1-line block ×4, first 2 shown]
	v_fma_f64 v[10:11], v[12:13], s[2:3], v[36:37]
	v_fma_f64 v[14:15], v[12:13], s[6:7], v[36:37]
	v_add_f64 v[36:37], v[26:27], v[32:33]
	v_fma_f64 v[20:21], v[20:21], -0.5, v[42:43]
	v_fma_f64 v[12:13], v[16:17], s[6:7], v[54:55]
	v_fma_f64 v[16:17], v[16:17], s[2:3], v[54:55]
	v_fma_f64 v[38:39], v[38:39], -0.5, v[46:47]
	v_add_f64 v[42:43], v[26:27], -v[32:33]
	v_add_f64 v[46:47], v[48:49], v[26:27]
	v_add_f64 v[26:27], v[40:41], v[28:29]
	;; [unrolled: 1-line block ×3, first 2 shown]
	v_fma_f64 v[44:45], v[44:45], -0.5, v[79:80]
	v_add_f64 v[54:55], v[52:53], -v[77:78]
	v_fma_f64 v[36:37], v[36:37], -0.5, v[48:49]
	v_add_f64 v[48:49], v[114:115], -v[28:29]
	v_add_f64 v[56:57], v[52:53], v[77:78]
	v_fma_f64 v[18:19], v[22:23], s[2:3], v[20:21]
	v_fma_f64 v[22:23], v[22:23], s[6:7], v[20:21]
	;; [unrolled: 1-line block ×6, first 2 shown]
	v_add_f64 v[28:29], v[46:47], v[32:33]
	v_add_f64 v[38:39], v[40:41], v[75:76]
	;; [unrolled: 1-line block ×3, first 2 shown]
	v_fma_f64 v[42:43], v[54:55], s[2:3], v[44:45]
	v_fma_f64 v[46:47], v[54:55], s[6:7], v[44:45]
	v_add_f64 v[44:45], v[108:109], v[112:113]
	v_fma_f64 v[32:33], v[48:49], s[6:7], v[36:37]
	v_fma_f64 v[36:37], v[48:49], s[2:3], v[36:37]
	v_add_f64 v[48:49], v[81:82], v[52:53]
	v_fma_f64 v[52:53], v[56:57], -0.5, v[81:82]
	v_add_f64 v[50:51], v[50:51], -v[75:76]
	v_add_f64 v[54:55], v[83:84], v[106:107]
	v_add_f64 v[60:61], v[85:86], v[108:109]
	;; [unrolled: 1-line block ×3, first 2 shown]
	v_fma_f64 v[56:57], v[40:41], -0.5, v[83:84]
	v_add_f64 v[58:59], v[108:109], -v[112:113]
	v_fma_f64 v[62:63], v[44:45], -0.5, v[85:86]
	v_add_f64 v[66:67], v[106:107], -v[110:111]
	v_add_f64 v[40:41], v[48:49], v[77:78]
	v_fma_f64 v[44:45], v[50:51], s[6:7], v[52:53]
	v_fma_f64 v[48:49], v[50:51], s[2:3], v[52:53]
	v_add_f64 v[50:51], v[54:55], v[110:111]
	v_add_f64 v[52:53], v[60:61], v[112:113]
	v_fma_f64 v[54:55], v[58:59], s[2:3], v[56:57]
	v_fma_f64 v[58:59], v[58:59], s[6:7], v[56:57]
	;; [unrolled: 1-line block ×4, first 2 shown]
	ds_write_b128 v95, v[2:5]
	ds_write_b128 v95, v[10:13] offset:1088
	ds_write_b128 v95, v[14:17] offset:2176
	;; [unrolled: 1-line block ×5, first 2 shown]
	v_lshlrev_b32_sdwa v2, v74, v102 dst_sel:DWORD dst_unused:UNUSED_PAD src0_sel:DWORD src1_sel:BYTE_0
	v_add3_u32 v2, 0, v2, v100
	ds_write_b128 v2, v[26:29] offset:6528
	ds_write_b128 v2, v[30:33] offset:7616
	;; [unrolled: 1-line block ×3, first 2 shown]
	v_lshlrev_b32_e32 v2, 4, v64
	v_add3_u32 v2, 0, v2, v100
	ds_write_b128 v2, v[38:41] offset:9792
	ds_write_b128 v2, v[42:45] offset:10880
	;; [unrolled: 1-line block ×3, first 2 shown]
	v_lshlrev_b32_e32 v2, 4, v87
	v_add3_u32 v2, 0, v2, v100
	v_lshlrev_b32_e32 v64, 2, v90
	ds_write_b128 v2, v[50:53] offset:13056
	ds_write_b128 v2, v[54:57] offset:14144
	;; [unrolled: 1-line block ×3, first 2 shown]
	v_lshlrev_b64 v[2:3], 4, v[64:65]
	s_waitcnt lgkmcnt(0)
	v_add_co_u32_e64 v18, s[2:3], s12, v2
	v_addc_co_u32_e64 v19, s[2:3], v0, v3, s[2:3]
	s_barrier
	global_load_dwordx4 v[2:5], v[18:19], off offset:3232
	global_load_dwordx4 v[6:9], v[18:19], off offset:3248
	;; [unrolled: 1-line block ×4, first 2 shown]
	v_lshlrev_b32_e32 v64, 2, v94
	v_lshlrev_b64 v[18:19], 4, v[64:65]
	v_lshlrev_b32_e32 v64, 2, v105
	v_add_co_u32_e64 v34, s[2:3], s12, v18
	v_addc_co_u32_e64 v35, s[2:3], v0, v19, s[2:3]
	global_load_dwordx4 v[18:21], v[34:35], off offset:3232
	global_load_dwordx4 v[22:25], v[34:35], off offset:3248
	;; [unrolled: 1-line block ×4, first 2 shown]
	v_lshlrev_b64 v[34:35], 4, v[64:65]
	s_mov_b32 s6, 0x4755a5e
	v_add_co_u32_e64 v50, s[2:3], s12, v34
	v_addc_co_u32_e64 v51, s[2:3], v0, v35, s[2:3]
	global_load_dwordx4 v[34:37], v[50:51], off offset:3232
	global_load_dwordx4 v[38:41], v[50:51], off offset:3248
	global_load_dwordx4 v[42:45], v[50:51], off offset:3264
	global_load_dwordx4 v[46:49], v[50:51], off offset:3280
	ds_read_b128 v[50:53], v70
	ds_read_b128 v[54:57], v72
	;; [unrolled: 1-line block ×3, first 2 shown]
	ds_read_b128 v[62:65], v95 offset:9792
	ds_read_b128 v[74:77], v95 offset:10880
	ds_read_b128 v[78:81], v69
	ds_read_b128 v[82:85], v68
	;; [unrolled: 1-line block ×5, first 2 shown]
	ds_read_b128 v[114:117], v95 offset:8704
	ds_read_b128 v[118:121], v95 offset:13056
	;; [unrolled: 1-line block ×5, first 2 shown]
	s_mov_b32 s2, 0x134454ff
	s_mov_b32 s3, 0xbfee6f0e
	;; [unrolled: 1-line block ×5, first 2 shown]
	s_waitcnt vmcnt(0) lgkmcnt(0)
	s_barrier
	v_mul_f64 v[0:1], v[52:53], v[4:5]
	v_mul_f64 v[4:5], v[50:51], v[4:5]
	;; [unrolled: 1-line block ×6, first 2 shown]
	v_fma_f64 v[50:51], v[50:51], v[2:3], v[0:1]
	v_mul_f64 v[0:1], v[120:121], v[16:17]
	v_mul_f64 v[16:17], v[118:119], v[16:17]
	v_fma_f64 v[52:53], v[52:53], v[2:3], -v[4:5]
	v_fma_f64 v[2:3], v[106:107], v[6:7], v[66:67]
	v_fma_f64 v[6:7], v[108:109], v[6:7], -v[8:9]
	v_mul_f64 v[8:9], v[56:57], v[20:21]
	v_fma_f64 v[4:5], v[62:63], v[10:11], v[86:87]
	v_fma_f64 v[10:11], v[64:65], v[10:11], -v[12:13]
	v_fma_f64 v[12:13], v[118:119], v[14:15], v[0:1]
	v_fma_f64 v[14:15], v[120:121], v[14:15], -v[16:17]
	v_mul_f64 v[0:1], v[54:55], v[20:21]
	v_mul_f64 v[16:17], v[60:61], v[24:25]
	;; [unrolled: 1-line block ×4, first 2 shown]
	v_fma_f64 v[54:55], v[54:55], v[18:19], v[8:9]
	v_mul_f64 v[8:9], v[128:129], v[32:33]
	v_mul_f64 v[28:29], v[74:75], v[28:29]
	;; [unrolled: 1-line block ×3, first 2 shown]
	v_fma_f64 v[56:57], v[56:57], v[18:19], -v[0:1]
	v_fma_f64 v[58:59], v[58:59], v[22:23], v[16:17]
	v_fma_f64 v[60:61], v[60:61], v[22:23], -v[20:21]
	v_fma_f64 v[22:23], v[74:75], v[26:27], v[24:25]
	v_mul_f64 v[0:1], v[72:73], v[36:37]
	v_fma_f64 v[24:25], v[126:127], v[30:31], v[8:9]
	v_mul_f64 v[8:9], v[70:71], v[36:37]
	v_add_f64 v[18:19], v[110:111], v[50:51]
	v_fma_f64 v[26:27], v[76:77], v[26:27], -v[28:29]
	v_mul_f64 v[16:17], v[116:117], v[40:41]
	v_add_f64 v[28:29], v[2:3], v[4:5]
	v_fma_f64 v[30:31], v[128:129], v[30:31], -v[32:33]
	v_fma_f64 v[62:63], v[70:71], v[34:35], v[0:1]
	v_mul_f64 v[0:1], v[124:125], v[44:45]
	v_fma_f64 v[64:65], v[72:73], v[34:35], -v[8:9]
	v_add_f64 v[8:9], v[18:19], v[2:3]
	v_mul_f64 v[20:21], v[114:115], v[40:41]
	v_mul_f64 v[32:33], v[122:123], v[44:45]
	v_fma_f64 v[66:67], v[114:115], v[38:39], v[16:17]
	v_fma_f64 v[16:17], v[28:29], -0.5, v[110:111]
	v_add_f64 v[18:19], v[52:53], -v[14:15]
	v_fma_f64 v[72:73], v[122:123], v[42:43], v[0:1]
	v_mul_f64 v[0:1], v[132:133], v[48:49]
	v_add_f64 v[8:9], v[8:9], v[4:5]
	v_add_f64 v[34:35], v[50:51], v[12:13]
	v_fma_f64 v[70:71], v[116:117], v[38:39], -v[20:21]
	v_fma_f64 v[42:43], v[124:125], v[42:43], -v[32:33]
	v_mul_f64 v[20:21], v[130:131], v[48:49]
	v_fma_f64 v[28:29], v[18:19], s[2:3], v[16:17]
	v_add_f64 v[32:33], v[6:7], -v[10:11]
	v_add_f64 v[36:37], v[50:51], -v[2:3]
	;; [unrolled: 1-line block ×3, first 2 shown]
	v_fma_f64 v[48:49], v[130:131], v[46:47], v[0:1]
	v_add_f64 v[0:1], v[8:9], v[12:13]
	v_fma_f64 v[8:9], v[34:35], -0.5, v[110:111]
	v_add_f64 v[34:35], v[112:113], v[52:53]
	v_fma_f64 v[46:47], v[132:133], v[46:47], -v[20:21]
	v_fma_f64 v[20:21], v[32:33], s[6:7], v[28:29]
	v_fma_f64 v[16:17], v[18:19], s[8:9], v[16:17]
	v_add_f64 v[28:29], v[36:37], v[38:39]
	v_add_f64 v[36:37], v[6:7], v[10:11]
	v_add_f64 v[40:41], v[2:3], -v[50:51]
	v_fma_f64 v[38:39], v[32:33], s[8:9], v[8:9]
	v_add_f64 v[44:45], v[4:5], -v[12:13]
	v_fma_f64 v[8:9], v[32:33], s[2:3], v[8:9]
	v_add_f64 v[34:35], v[34:35], v[6:7]
	v_add_f64 v[50:51], v[50:51], -v[12:13]
	v_fma_f64 v[12:13], v[32:33], s[14:15], v[16:17]
	v_fma_f64 v[36:37], v[36:37], -0.5, v[112:113]
	v_add_f64 v[76:77], v[58:59], -v[54:55]
	v_fma_f64 v[16:17], v[18:19], s[6:7], v[38:39]
	v_add_f64 v[32:33], v[40:41], v[44:45]
	v_fma_f64 v[18:19], v[18:19], s[14:15], v[8:9]
	v_add_f64 v[34:35], v[34:35], v[10:11]
	v_add_f64 v[40:41], v[52:53], v[14:15]
	v_add_f64 v[44:45], v[2:3], -v[4:5]
	v_fma_f64 v[38:39], v[50:51], s[8:9], v[36:37]
	v_fma_f64 v[4:5], v[28:29], s[16:17], v[20:21]
	;; [unrolled: 1-line block ×5, first 2 shown]
	v_add_f64 v[2:3], v[34:35], v[14:15]
	v_fma_f64 v[18:19], v[40:41], -0.5, v[112:113]
	v_add_f64 v[28:29], v[52:53], -v[6:7]
	v_add_f64 v[32:33], v[14:15], -v[10:11]
	v_add_f64 v[34:35], v[78:79], v[54:55]
	v_fma_f64 v[20:21], v[44:45], s[14:15], v[38:39]
	v_fma_f64 v[36:37], v[50:51], s[2:3], v[36:37]
	v_add_f64 v[38:39], v[58:59], v[22:23]
	v_add_f64 v[6:7], v[6:7], -v[52:53]
	v_fma_f64 v[40:41], v[44:45], s[2:3], v[18:19]
	v_add_f64 v[10:11], v[10:11], -v[14:15]
	v_fma_f64 v[14:15], v[44:45], s[8:9], v[18:19]
	v_add_f64 v[18:19], v[28:29], v[32:33]
	v_add_f64 v[28:29], v[34:35], v[58:59]
	v_fma_f64 v[32:33], v[44:45], s[6:7], v[36:37]
	v_fma_f64 v[34:35], v[38:39], -0.5, v[78:79]
	v_add_f64 v[36:37], v[56:57], -v[30:31]
	v_fma_f64 v[38:39], v[50:51], s[14:15], v[40:41]
	v_add_f64 v[40:41], v[6:7], v[10:11]
	v_fma_f64 v[44:45], v[50:51], s[6:7], v[14:15]
	v_add_f64 v[50:51], v[54:55], v[24:25]
	v_add_f64 v[28:29], v[28:29], v[22:23]
	v_fma_f64 v[6:7], v[18:19], s[16:17], v[20:21]
	v_fma_f64 v[10:11], v[18:19], s[16:17], v[32:33]
	;; [unrolled: 1-line block ×3, first 2 shown]
	v_add_f64 v[52:53], v[60:61], -v[26:27]
	v_fma_f64 v[14:15], v[40:41], s[16:17], v[38:39]
	v_fma_f64 v[18:19], v[40:41], s[16:17], v[44:45]
	v_fma_f64 v[38:39], v[50:51], -0.5, v[78:79]
	v_add_f64 v[20:21], v[28:29], v[24:25]
	v_add_f64 v[28:29], v[54:55], -v[58:59]
	v_add_f64 v[40:41], v[24:25], -v[22:23]
	v_fma_f64 v[34:35], v[36:37], s[8:9], v[34:35]
	v_add_f64 v[44:45], v[80:81], v[56:57]
	v_fma_f64 v[32:33], v[52:53], s[6:7], v[32:33]
	v_add_f64 v[50:51], v[60:61], v[26:27]
	v_fma_f64 v[74:75], v[52:53], s[8:9], v[38:39]
	v_add_f64 v[78:79], v[22:23], -v[24:25]
	v_fma_f64 v[38:39], v[52:53], s[2:3], v[38:39]
	v_add_f64 v[28:29], v[28:29], v[40:41]
	v_fma_f64 v[34:35], v[52:53], s[14:15], v[34:35]
	v_add_f64 v[40:41], v[44:45], v[60:61]
	v_add_f64 v[58:59], v[58:59], -v[22:23]
	v_fma_f64 v[44:45], v[50:51], -0.5, v[80:81]
	v_add_f64 v[50:51], v[54:55], -v[24:25]
	v_add_f64 v[54:55], v[76:77], v[78:79]
	v_fma_f64 v[52:53], v[36:37], s[6:7], v[74:75]
	v_fma_f64 v[24:25], v[28:29], s[16:17], v[32:33]
	;; [unrolled: 1-line block ×4, first 2 shown]
	v_add_f64 v[38:39], v[40:41], v[26:27]
	v_add_f64 v[40:41], v[56:57], v[30:31]
	v_fma_f64 v[74:75], v[50:51], s[8:9], v[44:45]
	v_add_f64 v[76:77], v[56:57], -v[60:61]
	v_add_f64 v[78:79], v[30:31], -v[26:27]
	v_fma_f64 v[32:33], v[54:55], s[16:17], v[52:53]
	v_add_f64 v[52:53], v[66:67], v[72:73]
	v_fma_f64 v[36:37], v[54:55], s[16:17], v[34:35]
	v_add_f64 v[22:23], v[38:39], v[30:31]
	v_fma_f64 v[34:35], v[40:41], -0.5, v[80:81]
	v_fma_f64 v[38:39], v[58:59], s[14:15], v[74:75]
	v_add_f64 v[40:41], v[82:83], v[62:63]
	v_add_f64 v[74:75], v[76:77], v[78:79]
	v_add_f64 v[56:57], v[60:61], -v[56:57]
	v_add_f64 v[26:27], v[26:27], -v[30:31]
	v_fma_f64 v[52:53], v[52:53], -0.5, v[82:83]
	v_add_f64 v[54:55], v[64:65], -v[46:47]
	v_fma_f64 v[76:77], v[58:59], s[2:3], v[34:35]
	v_fma_f64 v[30:31], v[58:59], s[8:9], v[34:35]
	;; [unrolled: 1-line block ×3, first 2 shown]
	v_add_f64 v[34:35], v[40:41], v[66:67]
	v_add_f64 v[60:61], v[70:71], -v[42:43]
	v_add_f64 v[56:57], v[56:57], v[26:27]
	v_add_f64 v[78:79], v[62:63], -v[66:67]
	v_fma_f64 v[40:41], v[54:55], s[2:3], v[52:53]
	v_fma_f64 v[76:77], v[50:51], s[14:15], v[76:77]
	;; [unrolled: 1-line block ×3, first 2 shown]
	v_add_f64 v[80:81], v[48:49], -v[72:73]
	v_fma_f64 v[44:45], v[58:59], s[6:7], v[44:45]
	v_add_f64 v[58:59], v[62:63], v[48:49]
	v_add_f64 v[86:87], v[34:35], v[72:73]
	v_fma_f64 v[26:27], v[74:75], s[16:17], v[38:39]
	v_fma_f64 v[106:107], v[60:61], s[6:7], v[40:41]
	;; [unrolled: 1-line block ×4, first 2 shown]
	v_add_f64 v[50:51], v[70:71], v[42:43]
	v_add_f64 v[76:77], v[64:65], v[46:47]
	;; [unrolled: 1-line block ×3, first 2 shown]
	v_fma_f64 v[58:59], v[58:59], -0.5, v[82:83]
	v_fma_f64 v[30:31], v[74:75], s[16:17], v[44:45]
	v_add_f64 v[40:41], v[86:87], v[48:49]
	v_fma_f64 v[52:53], v[54:55], s[8:9], v[52:53]
	v_add_f64 v[74:75], v[66:67], -v[62:63]
	v_add_f64 v[80:81], v[72:73], -v[48:49]
	v_add_f64 v[82:83], v[84:85], v[64:65]
	v_fma_f64 v[50:51], v[50:51], -0.5, v[84:85]
	v_add_f64 v[48:49], v[62:63], -v[48:49]
	v_add_f64 v[62:63], v[66:67], -v[72:73]
	v_fma_f64 v[66:67], v[76:77], -0.5, v[84:85]
	v_fma_f64 v[56:57], v[60:61], s[8:9], v[58:59]
	v_fma_f64 v[52:53], v[60:61], s[14:15], v[52:53]
	v_add_f64 v[72:73], v[74:75], v[80:81]
	v_fma_f64 v[58:59], v[60:61], s[2:3], v[58:59]
	v_add_f64 v[60:61], v[82:83], v[70:71]
	v_fma_f64 v[74:75], v[48:49], s[8:9], v[50:51]
	v_add_f64 v[76:77], v[64:65], -v[70:71]
	v_add_f64 v[80:81], v[46:47], -v[42:43]
	v_fma_f64 v[50:51], v[48:49], s[2:3], v[50:51]
	v_fma_f64 v[82:83], v[62:63], s[2:3], v[66:67]
	v_add_f64 v[64:65], v[70:71], -v[64:65]
	v_add_f64 v[70:71], v[42:43], -v[46:47]
	v_fma_f64 v[66:67], v[62:63], s[8:9], v[66:67]
	v_fma_f64 v[56:57], v[54:55], s[6:7], v[56:57]
	;; [unrolled: 1-line block ×3, first 2 shown]
	v_add_f64 v[42:43], v[60:61], v[42:43]
	v_fma_f64 v[58:59], v[62:63], s[14:15], v[74:75]
	v_add_f64 v[60:61], v[76:77], v[80:81]
	v_fma_f64 v[50:51], v[62:63], s[6:7], v[50:51]
	v_fma_f64 v[62:63], v[48:49], s[14:15], v[82:83]
	v_add_f64 v[64:65], v[64:65], v[70:71]
	v_fma_f64 v[66:67], v[48:49], s[6:7], v[66:67]
	v_fma_f64 v[44:45], v[78:79], s[16:17], v[106:107]
	;; [unrolled: 1-line block ×5, first 2 shown]
	v_add_f64 v[42:43], v[42:43], v[46:47]
	v_fma_f64 v[46:47], v[60:61], s[16:17], v[58:59]
	v_fma_f64 v[50:51], v[60:61], s[16:17], v[50:51]
	;; [unrolled: 1-line block ×4, first 2 shown]
	ds_write_b128 v95, v[0:3]
	ds_write_b128 v95, v[4:7] offset:3264
	ds_write_b128 v95, v[12:15] offset:6528
	ds_write_b128 v95, v[16:19] offset:9792
	ds_write_b128 v95, v[8:11] offset:13056
	ds_write_b128 v69, v[20:23]
	ds_write_b128 v69, v[24:27] offset:3264
	ds_write_b128 v69, v[32:35] offset:6528
	ds_write_b128 v69, v[36:39] offset:9792
	ds_write_b128 v69, v[28:31] offset:13056
	;; [unrolled: 5-line block ×3, first 2 shown]
	s_waitcnt lgkmcnt(0)
	s_barrier
	ds_read_b128 v[4:7], v98
	s_add_u32 s8, s12, 0x3fa0
	s_addc_u32 s9, s13, 0
	v_sub_u32_e32 v10, v170, v91
	v_cmp_ne_u32_e64 s[2:3], 0, v90
                                        ; implicit-def: $vgpr2_vgpr3
                                        ; implicit-def: $vgpr8_vgpr9
	s_and_saveexec_b64 s[6:7], s[2:3]
	s_xor_b64 s[6:7], exec, s[6:7]
	s_cbranch_execz .LBB0_24
; %bb.23:
	v_mov_b32_e32 v91, 0
	v_lshlrev_b64 v[0:1], 4, v[90:91]
	v_mov_b32_e32 v2, s9
	v_add_co_u32_e64 v0, s[2:3], s8, v0
	v_addc_co_u32_e64 v1, s[2:3], v2, v1, s[2:3]
	global_load_dwordx4 v[11:14], v[0:1], off
	ds_read_b128 v[0:3], v10 offset:16320
	s_waitcnt lgkmcnt(0)
	v_add_f64 v[8:9], v[4:5], -v[0:1]
	v_add_f64 v[15:16], v[6:7], v[2:3]
	v_add_f64 v[2:3], v[6:7], -v[2:3]
	v_add_f64 v[0:1], v[4:5], v[0:1]
	v_mul_f64 v[6:7], v[8:9], 0.5
	v_mul_f64 v[4:5], v[15:16], 0.5
	;; [unrolled: 1-line block ×3, first 2 shown]
	s_waitcnt vmcnt(0)
	v_mul_f64 v[8:9], v[6:7], v[13:14]
	v_fma_f64 v[15:16], v[4:5], v[13:14], v[2:3]
	v_fma_f64 v[2:3], v[4:5], v[13:14], -v[2:3]
	v_fma_f64 v[17:18], v[0:1], 0.5, v[8:9]
	v_fma_f64 v[0:1], v[0:1], 0.5, -v[8:9]
	v_fma_f64 v[8:9], -v[11:12], v[6:7], v[15:16]
	v_fma_f64 v[2:3], -v[11:12], v[6:7], v[2:3]
	v_fma_f64 v[13:14], v[4:5], v[11:12], v[17:18]
	v_fma_f64 v[0:1], -v[4:5], v[11:12], v[0:1]
                                        ; implicit-def: $vgpr4_vgpr5
	ds_write_b64 v98, v[13:14]
.LBB0_24:
	s_andn2_saveexec_b64 s[2:3], s[6:7]
	s_cbranch_execz .LBB0_26
; %bb.25:
	s_waitcnt lgkmcnt(0)
	v_add_f64 v[2:3], v[4:5], v[6:7]
	ds_read_b64 v[11:12], v170 offset:8168
	v_add_f64 v[0:1], v[4:5], -v[6:7]
	v_mov_b32_e32 v8, 0
	v_mov_b32_e32 v9, 0
	s_waitcnt lgkmcnt(0)
	v_xor_b32_e32 v12, 0x80000000, v12
	ds_write_b64 v170, v[11:12] offset:8168
	ds_write_b64 v98, v[2:3]
	v_mov_b32_e32 v2, v8
	v_mov_b32_e32 v3, v9
.LBB0_26:
	s_or_b64 exec, exec, s[2:3]
	v_mov_b32_e32 v95, 0
	s_waitcnt lgkmcnt(0)
	v_lshlrev_b64 v[4:5], 4, v[94:95]
	v_mov_b32_e32 v6, s9
	v_add_co_u32_e64 v4, s[2:3], s8, v4
	v_addc_co_u32_e64 v5, s[2:3], v6, v5, s[2:3]
	global_load_dwordx4 v[4:7], v[4:5], off
	v_mov_b32_e32 v106, v95
	v_lshlrev_b64 v[11:12], 4, v[105:106]
	v_mov_b32_e32 v13, s9
	v_add_co_u32_e64 v11, s[2:3], s8, v11
	v_addc_co_u32_e64 v12, s[2:3], v13, v12, s[2:3]
	global_load_dwordx4 v[11:14], v[11:12], off
	ds_write_b64 v98, v[8:9] offset:8
	ds_write_b128 v10, v[0:3] offset:16320
	v_lshl_add_u32 v27, v94, 4, v170
	ds_read_b128 v[0:3], v27
	ds_read_b128 v[15:18], v10 offset:15232
	v_mov_b32_e32 v104, v95
	v_mov_b32_e32 v28, s9
	;; [unrolled: 1-line block ×4, first 2 shown]
	s_waitcnt lgkmcnt(0)
	v_add_f64 v[8:9], v[0:1], -v[15:16]
	v_add_f64 v[19:20], v[2:3], v[17:18]
	v_add_f64 v[2:3], v[2:3], -v[17:18]
	v_add_f64 v[0:1], v[0:1], v[15:16]
	v_lshlrev_b64 v[15:16], 4, v[103:104]
	v_mov_b32_e32 v98, v95
	v_mul_f64 v[17:18], v[8:9], 0.5
	v_mul_f64 v[19:20], v[19:20], 0.5
	;; [unrolled: 1-line block ×3, first 2 shown]
	s_waitcnt vmcnt(1)
	v_mul_f64 v[8:9], v[17:18], v[6:7]
	v_fma_f64 v[21:22], v[19:20], v[6:7], v[2:3]
	v_fma_f64 v[6:7], v[19:20], v[6:7], -v[2:3]
	v_fma_f64 v[23:24], v[0:1], 0.5, v[8:9]
	v_fma_f64 v[25:26], v[0:1], 0.5, -v[8:9]
	v_add_co_u32_e64 v0, s[2:3], s8, v15
	v_addc_co_u32_e64 v1, s[2:3], v28, v16, s[2:3]
	global_load_dwordx4 v[0:3], v[0:1], off
	v_fma_f64 v[8:9], -v[4:5], v[17:18], v[21:22]
	v_fma_f64 v[17:18], -v[4:5], v[17:18], v[6:7]
	v_fma_f64 v[6:7], v[19:20], v[4:5], v[23:24]
	v_fma_f64 v[15:16], -v[19:20], v[4:5], v[25:26]
	v_lshl_add_u32 v28, v105, 4, v170
	ds_write_b128 v27, v[6:9]
	ds_write_b128 v10, v[15:18] offset:15232
	ds_read_b128 v[4:7], v28
	ds_read_b128 v[15:18], v10 offset:14144
	v_mov_b32_e32 v27, s9
	s_waitcnt lgkmcnt(0)
	v_add_f64 v[8:9], v[4:5], -v[15:16]
	v_add_f64 v[19:20], v[6:7], v[17:18]
	v_add_f64 v[6:7], v[6:7], -v[17:18]
	v_add_f64 v[4:5], v[4:5], v[15:16]
	v_mul_f64 v[8:9], v[8:9], 0.5
	v_mul_f64 v[17:18], v[19:20], 0.5
	;; [unrolled: 1-line block ×3, first 2 shown]
	v_lshlrev_b64 v[19:20], 4, v[101:102]
	s_waitcnt vmcnt(1)
	v_mul_f64 v[15:16], v[8:9], v[13:14]
	v_fma_f64 v[21:22], v[17:18], v[13:14], v[6:7]
	v_fma_f64 v[13:14], v[17:18], v[13:14], -v[6:7]
	v_fma_f64 v[23:24], v[4:5], 0.5, v[15:16]
	v_fma_f64 v[25:26], v[4:5], 0.5, -v[15:16]
	v_add_co_u32_e64 v4, s[2:3], s8, v19
	v_addc_co_u32_e64 v5, s[2:3], v27, v20, s[2:3]
	global_load_dwordx4 v[4:7], v[4:5], off
	v_fma_f64 v[15:16], -v[11:12], v[8:9], v[21:22]
	v_fma_f64 v[19:20], -v[11:12], v[8:9], v[13:14]
	v_fma_f64 v[13:14], v[17:18], v[11:12], v[23:24]
	v_fma_f64 v[17:18], -v[17:18], v[11:12], v[25:26]
	v_lshl_add_u32 v27, v103, 4, v170
	ds_write_b128 v28, v[13:16]
	ds_write_b128 v10, v[17:20] offset:14144
	ds_read_b128 v[11:14], v27
	ds_read_b128 v[15:18], v10 offset:13056
	v_mov_b32_e32 v28, s9
	s_waitcnt lgkmcnt(0)
	v_add_f64 v[8:9], v[11:12], -v[15:16]
	v_add_f64 v[19:20], v[13:14], v[17:18]
	v_add_f64 v[13:14], v[13:14], -v[17:18]
	v_add_f64 v[11:12], v[11:12], v[15:16]
	v_lshlrev_b64 v[17:18], 4, v[99:100]
	v_mul_f64 v[8:9], v[8:9], 0.5
	v_mul_f64 v[19:20], v[19:20], 0.5
	;; [unrolled: 1-line block ×3, first 2 shown]
	s_waitcnt vmcnt(1)
	v_mul_f64 v[15:16], v[8:9], v[2:3]
	v_fma_f64 v[21:22], v[19:20], v[2:3], v[13:14]
	v_fma_f64 v[2:3], v[19:20], v[2:3], -v[13:14]
	v_fma_f64 v[23:24], v[11:12], 0.5, v[15:16]
	v_fma_f64 v[25:26], v[11:12], 0.5, -v[15:16]
	v_add_co_u32_e64 v11, s[2:3], s8, v17
	v_addc_co_u32_e64 v12, s[2:3], v28, v18, s[2:3]
	global_load_dwordx4 v[11:14], v[11:12], off
	v_fma_f64 v[17:18], -v[0:1], v[8:9], v[21:22]
	v_fma_f64 v[15:16], v[19:20], v[0:1], v[23:24]
	v_fma_f64 v[2:3], -v[0:1], v[8:9], v[2:3]
	v_fma_f64 v[0:1], -v[19:20], v[0:1], v[25:26]
	v_lshl_add_u32 v28, v101, 4, v170
	ds_write_b128 v27, v[15:18]
	ds_write_b128 v10, v[0:3] offset:13056
	ds_read_b128 v[0:3], v28
	ds_read_b128 v[15:18], v10 offset:11968
	v_mov_b32_e32 v27, s9
	s_waitcnt lgkmcnt(0)
	v_add_f64 v[8:9], v[0:1], -v[15:16]
	v_add_f64 v[19:20], v[2:3], v[17:18]
	v_add_f64 v[2:3], v[2:3], -v[17:18]
	v_add_f64 v[0:1], v[0:1], v[15:16]
	v_lshlrev_b64 v[15:16], 4, v[97:98]
	v_mul_f64 v[17:18], v[8:9], 0.5
	v_mul_f64 v[19:20], v[19:20], 0.5
	;; [unrolled: 1-line block ×3, first 2 shown]
	s_waitcnt vmcnt(1)
	v_mul_f64 v[8:9], v[17:18], v[6:7]
	v_fma_f64 v[21:22], v[19:20], v[6:7], v[2:3]
	v_fma_f64 v[6:7], v[19:20], v[6:7], -v[2:3]
	v_fma_f64 v[23:24], v[0:1], 0.5, v[8:9]
	v_fma_f64 v[25:26], v[0:1], 0.5, -v[8:9]
	v_add_co_u32_e64 v0, s[2:3], s8, v15
	v_addc_co_u32_e64 v1, s[2:3], v27, v16, s[2:3]
	global_load_dwordx4 v[0:3], v[0:1], off
	v_fma_f64 v[8:9], -v[4:5], v[17:18], v[21:22]
	v_fma_f64 v[17:18], -v[4:5], v[17:18], v[6:7]
	v_fma_f64 v[6:7], v[19:20], v[4:5], v[23:24]
	v_fma_f64 v[15:16], -v[19:20], v[4:5], v[25:26]
	v_lshl_add_u32 v23, v99, 4, v170
	ds_write_b128 v28, v[6:9]
	ds_write_b128 v10, v[15:18] offset:11968
	ds_read_b128 v[4:7], v23
	ds_read_b128 v[15:18], v10 offset:10880
	s_waitcnt lgkmcnt(0)
	v_add_f64 v[8:9], v[4:5], -v[15:16]
	v_add_f64 v[19:20], v[6:7], v[17:18]
	v_add_f64 v[6:7], v[6:7], -v[17:18]
	v_add_f64 v[4:5], v[4:5], v[15:16]
	v_mul_f64 v[8:9], v[8:9], 0.5
	v_mul_f64 v[17:18], v[19:20], 0.5
	;; [unrolled: 1-line block ×3, first 2 shown]
	s_waitcnt vmcnt(1)
	v_mul_f64 v[15:16], v[8:9], v[13:14]
	v_fma_f64 v[19:20], v[17:18], v[13:14], v[6:7]
	v_fma_f64 v[13:14], v[17:18], v[13:14], -v[6:7]
	v_fma_f64 v[21:22], v[4:5], 0.5, v[15:16]
	v_fma_f64 v[15:16], v[4:5], 0.5, -v[15:16]
	v_fma_f64 v[6:7], -v[11:12], v[8:9], v[19:20]
	v_fma_f64 v[13:14], -v[11:12], v[8:9], v[13:14]
	v_fma_f64 v[4:5], v[17:18], v[11:12], v[21:22]
	v_fma_f64 v[11:12], -v[17:18], v[11:12], v[15:16]
	v_lshl_add_u32 v17, v97, 4, v170
	ds_write_b128 v23, v[4:7]
	ds_write_b128 v10, v[11:14] offset:10880
	ds_read_b128 v[4:7], v17
	ds_read_b128 v[11:14], v10 offset:9792
	s_waitcnt lgkmcnt(0)
	v_add_f64 v[8:9], v[4:5], -v[11:12]
	v_add_f64 v[15:16], v[6:7], v[13:14]
	v_add_f64 v[6:7], v[6:7], -v[13:14]
	v_add_f64 v[4:5], v[4:5], v[11:12]
	v_mul_f64 v[8:9], v[8:9], 0.5
	v_mul_f64 v[13:14], v[15:16], 0.5
	;; [unrolled: 1-line block ×3, first 2 shown]
	s_waitcnt vmcnt(0)
	v_mul_f64 v[11:12], v[8:9], v[2:3]
	v_fma_f64 v[15:16], v[13:14], v[2:3], v[6:7]
	v_fma_f64 v[2:3], v[13:14], v[2:3], -v[6:7]
	v_fma_f64 v[6:7], v[4:5], 0.5, v[11:12]
	v_fma_f64 v[11:12], v[4:5], 0.5, -v[11:12]
	v_fma_f64 v[4:5], -v[0:1], v[8:9], v[15:16]
	v_fma_f64 v[8:9], -v[0:1], v[8:9], v[2:3]
	v_fma_f64 v[2:3], v[13:14], v[0:1], v[6:7]
	v_fma_f64 v[6:7], -v[13:14], v[0:1], v[11:12]
	ds_write_b128 v17, v[2:5]
	ds_write_b128 v10, v[6:9] offset:9792
	s_and_saveexec_b64 s[2:3], vcc
	s_cbranch_execz .LBB0_28
; %bb.27:
	v_mov_b32_e32 v97, v95
	v_lshlrev_b64 v[0:1], 4, v[96:97]
	v_mov_b32_e32 v2, s9
	v_add_co_u32_e32 v0, vcc, s8, v0
	v_addc_co_u32_e32 v1, vcc, v2, v1, vcc
	global_load_dwordx4 v[0:3], v[0:1], off
	v_lshl_add_u32 v17, v96, 4, v170
	ds_read_b128 v[4:7], v17
	ds_read_b128 v[11:14], v10 offset:8704
	s_waitcnt lgkmcnt(0)
	v_add_f64 v[8:9], v[4:5], -v[11:12]
	v_add_f64 v[15:16], v[6:7], v[13:14]
	v_add_f64 v[6:7], v[6:7], -v[13:14]
	v_add_f64 v[4:5], v[4:5], v[11:12]
	v_mul_f64 v[8:9], v[8:9], 0.5
	v_mul_f64 v[13:14], v[15:16], 0.5
	;; [unrolled: 1-line block ×3, first 2 shown]
	s_waitcnt vmcnt(0)
	v_mul_f64 v[11:12], v[8:9], v[2:3]
	v_fma_f64 v[15:16], v[13:14], v[2:3], v[6:7]
	v_fma_f64 v[2:3], v[13:14], v[2:3], -v[6:7]
	v_fma_f64 v[6:7], v[4:5], 0.5, v[11:12]
	v_fma_f64 v[11:12], v[4:5], 0.5, -v[11:12]
	v_fma_f64 v[4:5], -v[0:1], v[8:9], v[15:16]
	v_fma_f64 v[8:9], -v[0:1], v[8:9], v[2:3]
	v_fma_f64 v[2:3], v[13:14], v[0:1], v[6:7]
	v_fma_f64 v[6:7], -v[13:14], v[0:1], v[11:12]
	ds_write_b128 v17, v[2:5]
	ds_write_b128 v10, v[6:9] offset:8704
.LBB0_28:
	s_or_b64 exec, exec, s[2:3]
	s_waitcnt lgkmcnt(0)
	s_barrier
	s_and_saveexec_b64 s[2:3], s[0:1]
	s_cbranch_execz .LBB0_31
; %bb.29:
	v_mul_lo_u32 v0, s5, v92
	v_mul_lo_u32 v3, s4, v93
	v_mad_u64_u32 v[1:2], s[0:1], s4, v92, 0
	v_mov_b32_e32 v7, s11
	v_mov_b32_e32 v91, 0
	v_add3_u32 v2, v2, v3, v0
	v_lshlrev_b64 v[1:2], 4, v[1:2]
	v_lshl_add_u32 v0, v90, 4, v170
	v_add_co_u32_e32 v1, vcc, s10, v1
	v_addc_co_u32_e32 v9, vcc, v7, v2, vcc
	v_lshlrev_b64 v[7:8], 4, v[88:89]
	ds_read_b128 v[3:6], v0
	v_add_co_u32_e32 v2, vcc, v1, v7
	v_addc_co_u32_e32 v1, vcc, v9, v8, vcc
	v_lshlrev_b64 v[7:8], 4, v[90:91]
	s_movk_i32 s0, 0x43
	v_add_co_u32_e32 v11, vcc, v2, v7
	v_addc_co_u32_e32 v12, vcc, v1, v8, vcc
	ds_read_b128 v[7:10], v0 offset:1088
	s_waitcnt lgkmcnt(1)
	global_store_dwordx4 v[11:12], v[3:6], off
	s_nop 0
	v_add_u32_e32 v3, 0x44, v90
	v_mov_b32_e32 v4, v91
	v_lshlrev_b64 v[3:4], 4, v[3:4]
	v_add_co_u32_e32 v3, vcc, v2, v3
	v_addc_co_u32_e32 v4, vcc, v1, v4, vcc
	s_waitcnt lgkmcnt(0)
	global_store_dwordx4 v[3:4], v[7:10], off
	ds_read_b128 v[3:6], v0 offset:2176
	v_add_u32_e32 v7, 0x88, v90
	v_mov_b32_e32 v8, v91
	v_lshlrev_b64 v[7:8], 4, v[7:8]
	v_add_co_u32_e32 v11, vcc, v2, v7
	v_addc_co_u32_e32 v12, vcc, v1, v8, vcc
	ds_read_b128 v[7:10], v0 offset:3264
	s_waitcnt lgkmcnt(1)
	global_store_dwordx4 v[11:12], v[3:6], off
	s_nop 0
	v_add_u32_e32 v3, 0xcc, v90
	v_mov_b32_e32 v4, v91
	v_lshlrev_b64 v[3:4], 4, v[3:4]
	v_add_co_u32_e32 v3, vcc, v2, v3
	v_addc_co_u32_e32 v4, vcc, v1, v4, vcc
	s_waitcnt lgkmcnt(0)
	global_store_dwordx4 v[3:4], v[7:10], off
	ds_read_b128 v[3:6], v0 offset:4352
	v_add_u32_e32 v7, 0x110, v90
	v_mov_b32_e32 v8, v91
	v_lshlrev_b64 v[7:8], 4, v[7:8]
	;; [unrolled: 17-line block ×7, first 2 shown]
	v_add_co_u32_e32 v7, vcc, v2, v7
	v_addc_co_u32_e32 v8, vcc, v1, v8, vcc
	v_cmp_eq_u32_e32 vcc, s0, v90
	s_waitcnt lgkmcnt(0)
	global_store_dwordx4 v[7:8], v[3:6], off
	s_and_b64 exec, exec, vcc
	s_cbranch_execz .LBB0_31
; %bb.30:
	ds_read_b128 v[3:6], v0 offset:15248
	v_add_co_u32_e32 v0, vcc, 0x3000, v2
	v_addc_co_u32_e32 v1, vcc, 0, v1, vcc
	s_waitcnt lgkmcnt(0)
	global_store_dwordx4 v[0:1], v[3:6], off offset:4032
.LBB0_31:
	s_endpgm
	.section	.rodata,"a",@progbits
	.p2align	6, 0x0
	.amdhsa_kernel fft_rtc_back_len1020_factors_2_17_2_3_5_wgs_204_tpt_68_halfLds_dp_op_CI_CI_unitstride_sbrr_R2C_dirReg
		.amdhsa_group_segment_fixed_size 0
		.amdhsa_private_segment_fixed_size 156
		.amdhsa_kernarg_size 104
		.amdhsa_user_sgpr_count 6
		.amdhsa_user_sgpr_private_segment_buffer 1
		.amdhsa_user_sgpr_dispatch_ptr 0
		.amdhsa_user_sgpr_queue_ptr 0
		.amdhsa_user_sgpr_kernarg_segment_ptr 1
		.amdhsa_user_sgpr_dispatch_id 0
		.amdhsa_user_sgpr_flat_scratch_init 0
		.amdhsa_user_sgpr_private_segment_size 0
		.amdhsa_uses_dynamic_stack 0
		.amdhsa_system_sgpr_private_segment_wavefront_offset 1
		.amdhsa_system_sgpr_workgroup_id_x 1
		.amdhsa_system_sgpr_workgroup_id_y 0
		.amdhsa_system_sgpr_workgroup_id_z 0
		.amdhsa_system_sgpr_workgroup_info 0
		.amdhsa_system_vgpr_workitem_id 0
		.amdhsa_next_free_vgpr 256
		.amdhsa_next_free_sgpr 64
		.amdhsa_reserve_vcc 1
		.amdhsa_reserve_flat_scratch 0
		.amdhsa_float_round_mode_32 0
		.amdhsa_float_round_mode_16_64 0
		.amdhsa_float_denorm_mode_32 3
		.amdhsa_float_denorm_mode_16_64 3
		.amdhsa_dx10_clamp 1
		.amdhsa_ieee_mode 1
		.amdhsa_fp16_overflow 0
		.amdhsa_exception_fp_ieee_invalid_op 0
		.amdhsa_exception_fp_denorm_src 0
		.amdhsa_exception_fp_ieee_div_zero 0
		.amdhsa_exception_fp_ieee_overflow 0
		.amdhsa_exception_fp_ieee_underflow 0
		.amdhsa_exception_fp_ieee_inexact 0
		.amdhsa_exception_int_div_zero 0
	.end_amdhsa_kernel
	.text
.Lfunc_end0:
	.size	fft_rtc_back_len1020_factors_2_17_2_3_5_wgs_204_tpt_68_halfLds_dp_op_CI_CI_unitstride_sbrr_R2C_dirReg, .Lfunc_end0-fft_rtc_back_len1020_factors_2_17_2_3_5_wgs_204_tpt_68_halfLds_dp_op_CI_CI_unitstride_sbrr_R2C_dirReg
                                        ; -- End function
	.section	.AMDGPU.csdata,"",@progbits
; Kernel info:
; codeLenInByte = 18200
; NumSgprs: 68
; NumVgprs: 256
; ScratchSize: 156
; MemoryBound: 0
; FloatMode: 240
; IeeeMode: 1
; LDSByteSize: 0 bytes/workgroup (compile time only)
; SGPRBlocks: 8
; VGPRBlocks: 63
; NumSGPRsForWavesPerEU: 68
; NumVGPRsForWavesPerEU: 256
; Occupancy: 1
; WaveLimiterHint : 1
; COMPUTE_PGM_RSRC2:SCRATCH_EN: 1
; COMPUTE_PGM_RSRC2:USER_SGPR: 6
; COMPUTE_PGM_RSRC2:TRAP_HANDLER: 0
; COMPUTE_PGM_RSRC2:TGID_X_EN: 1
; COMPUTE_PGM_RSRC2:TGID_Y_EN: 0
; COMPUTE_PGM_RSRC2:TGID_Z_EN: 0
; COMPUTE_PGM_RSRC2:TIDIG_COMP_CNT: 0
	.type	__hip_cuid_f4404fe9670d52e4,@object ; @__hip_cuid_f4404fe9670d52e4
	.section	.bss,"aw",@nobits
	.globl	__hip_cuid_f4404fe9670d52e4
__hip_cuid_f4404fe9670d52e4:
	.byte	0                               ; 0x0
	.size	__hip_cuid_f4404fe9670d52e4, 1

	.ident	"AMD clang version 19.0.0git (https://github.com/RadeonOpenCompute/llvm-project roc-6.4.0 25133 c7fe45cf4b819c5991fe208aaa96edf142730f1d)"
	.section	".note.GNU-stack","",@progbits
	.addrsig
	.addrsig_sym __hip_cuid_f4404fe9670d52e4
	.amdgpu_metadata
---
amdhsa.kernels:
  - .args:
      - .actual_access:  read_only
        .address_space:  global
        .offset:         0
        .size:           8
        .value_kind:     global_buffer
      - .offset:         8
        .size:           8
        .value_kind:     by_value
      - .actual_access:  read_only
        .address_space:  global
        .offset:         16
        .size:           8
        .value_kind:     global_buffer
      - .actual_access:  read_only
        .address_space:  global
        .offset:         24
        .size:           8
        .value_kind:     global_buffer
      - .actual_access:  read_only
        .address_space:  global
        .offset:         32
        .size:           8
        .value_kind:     global_buffer
      - .offset:         40
        .size:           8
        .value_kind:     by_value
      - .actual_access:  read_only
        .address_space:  global
        .offset:         48
        .size:           8
        .value_kind:     global_buffer
      - .actual_access:  read_only
        .address_space:  global
        .offset:         56
        .size:           8
        .value_kind:     global_buffer
      - .offset:         64
        .size:           4
        .value_kind:     by_value
      - .actual_access:  read_only
        .address_space:  global
        .offset:         72
        .size:           8
        .value_kind:     global_buffer
      - .actual_access:  read_only
        .address_space:  global
        .offset:         80
        .size:           8
        .value_kind:     global_buffer
      - .actual_access:  read_only
        .address_space:  global
        .offset:         88
        .size:           8
        .value_kind:     global_buffer
      - .actual_access:  write_only
        .address_space:  global
        .offset:         96
        .size:           8
        .value_kind:     global_buffer
    .group_segment_fixed_size: 0
    .kernarg_segment_align: 8
    .kernarg_segment_size: 104
    .language:       OpenCL C
    .language_version:
      - 2
      - 0
    .max_flat_workgroup_size: 204
    .name:           fft_rtc_back_len1020_factors_2_17_2_3_5_wgs_204_tpt_68_halfLds_dp_op_CI_CI_unitstride_sbrr_R2C_dirReg
    .private_segment_fixed_size: 156
    .sgpr_count:     68
    .sgpr_spill_count: 0
    .symbol:         fft_rtc_back_len1020_factors_2_17_2_3_5_wgs_204_tpt_68_halfLds_dp_op_CI_CI_unitstride_sbrr_R2C_dirReg.kd
    .uniform_work_group_size: 1
    .uses_dynamic_stack: false
    .vgpr_count:     256
    .vgpr_spill_count: 38
    .wavefront_size: 64
amdhsa.target:   amdgcn-amd-amdhsa--gfx906
amdhsa.version:
  - 1
  - 2
...

	.end_amdgpu_metadata
